;; amdgpu-corpus repo=ROCm/rocFFT kind=compiled arch=gfx906 opt=O3
	.text
	.amdgcn_target "amdgcn-amd-amdhsa--gfx906"
	.amdhsa_code_object_version 6
	.protected	bluestein_single_fwd_len605_dim1_sp_op_CI_CI ; -- Begin function bluestein_single_fwd_len605_dim1_sp_op_CI_CI
	.globl	bluestein_single_fwd_len605_dim1_sp_op_CI_CI
	.p2align	8
	.type	bluestein_single_fwd_len605_dim1_sp_op_CI_CI,@function
bluestein_single_fwd_len605_dim1_sp_op_CI_CI: ; @bluestein_single_fwd_len605_dim1_sp_op_CI_CI
; %bb.0:
	s_load_dwordx4 s[8:11], s[4:5], 0x28
	v_mul_u32_u24_e32 v1, 0x4a8, v0
	v_add_u32_sdwa v80, s6, v1 dst_sel:DWORD dst_unused:UNUSED_PAD src0_sel:DWORD src1_sel:WORD_1
	v_mov_b32_e32 v81, 0
	s_waitcnt lgkmcnt(0)
	v_cmp_gt_u64_e32 vcc, s[8:9], v[80:81]
	s_and_saveexec_b64 s[0:1], vcc
	s_cbranch_execz .LBB0_10
; %bb.1:
	s_load_dwordx4 s[0:3], s[4:5], 0x18
	s_load_dwordx4 s[12:15], s[4:5], 0x0
	v_mov_b32_e32 v2, 55
	v_mul_lo_u16_sdwa v1, v1, v2 dst_sel:DWORD dst_unused:UNUSED_PAD src0_sel:WORD_1 src1_sel:DWORD
	v_sub_u16_e32 v98, v0, v1
	s_waitcnt lgkmcnt(0)
	s_load_dwordx4 s[16:19], s[0:1], 0x0
	v_lshlrev_b32_e32 v97, 3, v98
                                        ; implicit-def: $vgpr52
	s_waitcnt lgkmcnt(0)
	v_mad_u64_u32 v[0:1], s[0:1], s18, v80, 0
	v_mad_u64_u32 v[2:3], s[0:1], s16, v98, 0
	s_mul_i32 s6, s17, 0x1b8
	s_mul_hi_u32 s7, s16, 0x1b8
	v_mad_u64_u32 v[4:5], s[0:1], s19, v80, v[1:2]
	s_add_i32 s6, s7, s6
	s_mul_i32 s7, s16, 0x1b8
	v_mad_u64_u32 v[5:6], s[0:1], s17, v98, v[3:4]
	v_mov_b32_e32 v1, v4
	v_lshlrev_b64 v[0:1], 3, v[0:1]
	v_mov_b32_e32 v6, s11
	v_mov_b32_e32 v3, v5
	v_add_co_u32_e32 v4, vcc, s10, v0
	v_addc_co_u32_e32 v5, vcc, v6, v1, vcc
	v_lshlrev_b64 v[0:1], 3, v[2:3]
	v_mov_b32_e32 v2, s13
	v_add_co_u32_e32 v0, vcc, v4, v0
	v_add_co_u32_e64 v54, s[0:1], s12, v97
	v_addc_co_u32_e32 v1, vcc, v5, v1, vcc
	v_addc_co_u32_e64 v24, vcc, 0, v2, s[0:1]
	v_mov_b32_e32 v3, s6
	v_add_co_u32_e32 v2, vcc, s7, v0
	v_addc_co_u32_e32 v3, vcc, v1, v3, vcc
	v_mov_b32_e32 v5, s6
	v_add_co_u32_e32 v4, vcc, s7, v2
	v_addc_co_u32_e32 v5, vcc, v3, v5, vcc
	;; [unrolled: 3-line block ×3, first 2 shown]
	global_load_dwordx2 v[8:9], v[0:1], off
	global_load_dwordx2 v[10:11], v[2:3], off
	;; [unrolled: 1-line block ×4, first 2 shown]
	global_load_dwordx2 v[93:94], v97, s[12:13]
	global_load_dwordx2 v[91:92], v97, s[12:13] offset:440
	global_load_dwordx2 v[87:88], v97, s[12:13] offset:880
	;; [unrolled: 1-line block ×3, first 2 shown]
	v_mov_b32_e32 v1, s6
	v_add_co_u32_e32 v0, vcc, s7, v6
	v_addc_co_u32_e32 v1, vcc, v7, v1, vcc
	global_load_dwordx2 v[2:3], v[0:1], off
	v_mov_b32_e32 v4, s6
	v_add_co_u32_e32 v0, vcc, s7, v0
	v_addc_co_u32_e32 v1, vcc, v1, v4, vcc
	global_load_dwordx2 v[4:5], v[0:1], off
	;; [unrolled: 4-line block ×4, first 2 shown]
	global_load_dwordx2 v[89:90], v97, s[12:13] offset:1760
	global_load_dwordx2 v[85:86], v97, s[12:13] offset:2200
	;; [unrolled: 1-line block ×4, first 2 shown]
	v_mov_b32_e32 v18, s6
	v_add_co_u32_e32 v0, vcc, s7, v0
	v_addc_co_u32_e32 v1, vcc, v1, v18, vcc
	global_load_dwordx2 v[18:19], v[0:1], off
	v_mov_b32_e32 v20, s6
	v_add_co_u32_e32 v0, vcc, s7, v0
	v_addc_co_u32_e32 v1, vcc, v1, v20, vcc
	global_load_dwordx2 v[20:21], v[0:1], off
	global_load_dwordx2 v[78:79], v97, s[12:13] offset:3520
	global_load_dwordx2 v[74:75], v97, s[12:13] offset:3960
	v_mov_b32_e32 v22, s6
	v_add_co_u32_e32 v0, vcc, s7, v0
	v_addc_co_u32_e32 v1, vcc, v1, v22, vcc
	s_movk_i32 s6, 0x1000
	global_load_dwordx2 v[22:23], v[0:1], off
	v_add_co_u32_e32 v0, vcc, s6, v54
	v_addc_co_u32_e32 v1, vcc, 0, v24, vcc
	global_load_dwordx2 v[72:73], v[0:1], off offset:304
	s_load_dwordx4 s[8:11], s[2:3], 0x0
	s_mov_b32 s2, 0x3f575c64
	s_mov_b32 s7, 0x3ed4b147
	;; [unrolled: 1-line block ×5, first 2 shown]
	v_cmp_gt_u16_e32 vcc, 11, v98
	s_waitcnt vmcnt(17)
	v_mul_f32_e32 v0, v9, v94
	v_mul_f32_e32 v1, v8, v94
	v_fmac_f32_e32 v0, v8, v93
	v_fma_f32 v1, v9, v93, -v1
	s_waitcnt vmcnt(16)
	v_mul_f32_e32 v8, v11, v92
	v_mul_f32_e32 v9, v10, v92
	v_fmac_f32_e32 v8, v10, v91
	v_fma_f32 v9, v11, v91, -v9
	ds_write2_b64 v97, v[0:1], v[8:9] offset1:55
	s_waitcnt vmcnt(15)
	v_mul_f32_e32 v0, v13, v88
	v_mul_f32_e32 v1, v12, v88
	s_waitcnt vmcnt(14)
	v_mul_f32_e32 v8, v15, v84
	v_mul_f32_e32 v9, v14, v84
	v_fmac_f32_e32 v0, v12, v87
	v_fma_f32 v1, v13, v87, -v1
	v_fmac_f32_e32 v8, v14, v83
	v_fma_f32 v9, v15, v83, -v9
	ds_write2_b64 v97, v[0:1], v[8:9] offset0:110 offset1:165
	v_add_u32_e32 v1, 0x400, v97
	s_waitcnt vmcnt(9)
	v_mul_f32_e32 v8, v3, v90
	v_mul_f32_e32 v0, v2, v90
	v_fmac_f32_e32 v8, v2, v89
	v_fma_f32 v9, v3, v89, -v0
	s_waitcnt vmcnt(8)
	v_mul_f32_e32 v2, v5, v86
	v_mul_f32_e32 v0, v4, v86
	v_fmac_f32_e32 v2, v4, v85
	v_fma_f32 v3, v5, v85, -v0
	s_waitcnt vmcnt(7)
	v_mul_f32_e32 v0, v6, v82
	ds_write2_b64 v1, v[8:9], v[2:3] offset0:92 offset1:147
	v_mul_f32_e32 v2, v7, v82
	v_fma_f32 v3, v7, v81, -v0
	s_waitcnt vmcnt(6)
	v_mul_f32_e32 v4, v17, v77
	v_mul_f32_e32 v0, v16, v77
	v_fmac_f32_e32 v2, v6, v81
	v_fmac_f32_e32 v4, v16, v76
	v_fma_f32 v5, v17, v76, -v0
	v_add_u32_e32 v0, 0x800, v97
	ds_write2_b64 v0, v[2:3], v[4:5] offset0:74 offset1:129
	s_waitcnt vmcnt(3)
	v_mul_f32_e32 v2, v19, v79
	v_mul_f32_e32 v3, v18, v79
	s_waitcnt vmcnt(2)
	v_mul_f32_e32 v4, v21, v75
	v_mul_f32_e32 v5, v20, v75
	v_fmac_f32_e32 v2, v18, v78
	v_fma_f32 v3, v19, v78, -v3
	v_fmac_f32_e32 v4, v20, v74
	v_fma_f32 v5, v21, v74, -v5
	ds_write2_b64 v0, v[2:3], v[4:5] offset0:184 offset1:239
	s_waitcnt vmcnt(0)
	v_mul_f32_e32 v2, v23, v73
	v_mul_f32_e32 v3, v22, v73
	v_fmac_f32_e32 v2, v22, v72
	v_fma_f32 v3, v23, v72, -v3
	ds_write_b64 v97, v[2:3] offset:4400
	s_waitcnt lgkmcnt(0)
	; wave barrier
	s_waitcnt lgkmcnt(0)
	ds_read2_b64 v[2:5], v97 offset1:55
	ds_read2_b64 v[6:9], v97 offset0:110 offset1:165
	ds_read2_b64 v[10:13], v1 offset0:92 offset1:147
	;; [unrolled: 1-line block ×4, first 2 shown]
	ds_read_b64 v[22:23], v97 offset:4400
	s_waitcnt lgkmcnt(5)
	v_add_f32_e32 v24, v2, v4
	v_add_f32_e32 v25, v3, v5
	s_waitcnt lgkmcnt(4)
	v_add_f32_e32 v24, v24, v6
	v_add_f32_e32 v25, v25, v7
	v_add_f32_e32 v24, v24, v8
	v_add_f32_e32 v25, v25, v9
	s_waitcnt lgkmcnt(3)
	v_add_f32_e32 v24, v24, v10
	v_add_f32_e32 v25, v25, v11
	;; [unrolled: 5-line block ×3, first 2 shown]
	v_add_f32_e32 v24, v24, v16
	s_waitcnt lgkmcnt(1)
	v_add_f32_e32 v27, v21, v7
	v_sub_f32_e32 v29, v7, v21
	s_waitcnt lgkmcnt(0)
	v_sub_f32_e32 v7, v5, v23
	v_add_f32_e32 v25, v25, v17
	v_add_f32_e32 v24, v24, v18
	;; [unrolled: 1-line block ×3, first 2 shown]
	v_sub_f32_e32 v28, v6, v20
	v_add_f32_e32 v30, v18, v8
	v_sub_f32_e32 v18, v8, v18
	v_add_f32_e32 v32, v16, v10
	;; [unrolled: 2-line block ×4, first 2 shown]
	v_mul_f32_e32 v8, 0xbf0a6770, v7
	v_mul_f32_e32 v10, 0xbf68dda4, v7
	;; [unrolled: 1-line block ×5, first 2 shown]
	v_sub_f32_e32 v4, v4, v22
	v_add_f32_e32 v25, v25, v19
	v_add_f32_e32 v24, v24, v20
	;; [unrolled: 1-line block ×3, first 2 shown]
	v_sub_f32_e32 v19, v9, v19
	v_add_f32_e32 v33, v17, v11
	v_sub_f32_e32 v17, v11, v17
	v_add_f32_e32 v35, v15, v13
	v_sub_f32_e32 v37, v13, v15
	v_fma_f32 v9, v6, s2, -v8
	v_fmac_f32_e32 v8, 0x3f575c64, v6
	v_fma_f32 v11, v6, s7, -v10
	v_fmac_f32_e32 v10, 0x3ed4b147, v6
	;; [unrolled: 2-line block ×5, first 2 shown]
	v_add_f32_e32 v5, v23, v5
	v_mul_f32_e32 v6, 0xbf0a6770, v4
	v_mul_f32_e32 v38, 0xbf68dda4, v4
	;; [unrolled: 1-line block ×5, first 2 shown]
	v_add_f32_e32 v25, v25, v21
	v_mov_b32_e32 v21, v6
	v_mov_b32_e32 v39, v38
	;; [unrolled: 1-line block ×5, first 2 shown]
	v_fma_f32 v4, v5, s12, -v4
	v_add_f32_e32 v47, v2, v7
	v_mul_f32_e32 v7, 0xbf68dda4, v29
	v_fmac_f32_e32 v21, 0x3f575c64, v5
	v_fma_f32 v6, v5, s2, -v6
	v_fmac_f32_e32 v39, 0x3ed4b147, v5
	v_fma_f32 v38, v5, s7, -v38
	;; [unrolled: 2-line block ×4, first 2 shown]
	v_fmac_f32_e32 v44, 0xbf75a155, v5
	v_add_f32_e32 v5, v2, v9
	v_add_f32_e32 v45, v2, v14
	;; [unrolled: 1-line block ×3, first 2 shown]
	v_fma_f32 v4, v26, s7, -v7
	v_mul_f32_e32 v14, 0xbf68dda4, v28
	v_add_f32_e32 v4, v4, v5
	v_mov_b32_e32 v5, v14
	v_add_f32_e32 v9, v3, v21
	v_fmac_f32_e32 v5, 0x3ed4b147, v27
	v_add_f32_e32 v5, v5, v9
	v_mul_f32_e32 v9, 0xbf7d64f0, v19
	v_add_f32_e32 v46, v2, v20
	v_fma_f32 v20, v30, s6, -v9
	v_add_f32_e32 v4, v20, v4
	v_mul_f32_e32 v20, 0xbf7d64f0, v18
	v_mov_b32_e32 v21, v20
	v_fmac_f32_e32 v21, 0xbe11bafb, v31
	v_add_f32_e32 v5, v21, v5
	v_mul_f32_e32 v21, 0xbf4178ce, v17
	v_add_f32_e32 v8, v2, v8
	v_add_f32_e32 v11, v2, v11
	;; [unrolled: 1-line block ×7, first 2 shown]
	v_fma_f32 v22, v32, s3, -v21
	v_add_f32_e32 v4, v22, v4
	v_mul_f32_e32 v22, 0xbf4178ce, v16
	v_add_f32_e32 v6, v3, v6
	v_add_f32_e32 v39, v3, v39
	;; [unrolled: 1-line block ×9, first 2 shown]
	v_mov_b32_e32 v23, v22
	v_fmac_f32_e32 v23, 0xbf27a4f4, v33
	v_fmac_f32_e32 v7, 0x3ed4b147, v26
	v_add_f32_e32 v5, v23, v5
	v_mul_f32_e32 v23, 0xbe903f40, v37
	v_add_f32_e32 v7, v7, v8
	v_fma_f32 v8, v27, s7, -v14
	v_fma_f32 v24, v34, s12, -v23
	v_add_f32_e32 v6, v8, v6
	v_fma_f32 v8, v31, s6, -v20
	v_add_f32_e32 v4, v24, v4
	v_mul_f32_e32 v24, 0xbe903f40, v36
	v_fmac_f32_e32 v9, 0xbe11bafb, v30
	v_add_f32_e32 v6, v8, v6
	v_fma_f32 v8, v33, s3, -v22
	v_add_f32_e32 v7, v9, v7
	v_fmac_f32_e32 v21, 0xbf27a4f4, v32
	v_add_f32_e32 v6, v8, v6
	v_fma_f32 v8, v35, s12, -v24
	v_add_f32_e32 v7, v21, v7
	v_add_f32_e32 v21, v8, v6
	v_mul_f32_e32 v8, 0xbf4178ce, v29
	v_fma_f32 v6, v26, s3, -v8
	v_add_f32_e32 v6, v6, v11
	v_mul_f32_e32 v11, 0x3e903f40, v19
	v_fmac_f32_e32 v23, 0xbf75a155, v34
	v_mul_f32_e32 v9, 0xbf4178ce, v28
	v_fma_f32 v14, v30, s12, -v11
	v_add_f32_e32 v20, v23, v7
	v_mov_b32_e32 v7, v9
	v_add_f32_e32 v6, v14, v6
	v_mul_f32_e32 v14, 0x3e903f40, v18
	v_fmac_f32_e32 v7, 0xbf27a4f4, v27
	v_mov_b32_e32 v22, v14
	v_add_f32_e32 v7, v7, v39
	v_fmac_f32_e32 v22, 0xbf75a155, v31
	v_add_f32_e32 v7, v22, v7
	v_mul_f32_e32 v22, 0x3f7d64f0, v17
	v_fma_f32 v23, v32, s6, -v22
	v_add_f32_e32 v6, v23, v6
	v_mul_f32_e32 v23, 0x3f7d64f0, v16
	v_mov_b32_e32 v25, v24
	v_mov_b32_e32 v24, v23
	v_fmac_f32_e32 v24, 0xbe11bafb, v33
	v_fmac_f32_e32 v25, 0xbf75a155, v35
	v_add_f32_e32 v7, v24, v7
	v_mul_f32_e32 v24, 0x3f0a6770, v37
	v_fmac_f32_e32 v8, 0xbf27a4f4, v26
	v_fma_f32 v9, v27, s3, -v9
	v_add_f32_e32 v5, v25, v5
	v_fma_f32 v25, v34, s2, -v24
	v_add_f32_e32 v8, v8, v10
	v_add_f32_e32 v9, v9, v38
	v_fma_f32 v10, v31, s12, -v14
	v_add_f32_e32 v6, v25, v6
	v_mul_f32_e32 v25, 0x3f0a6770, v36
	v_fmac_f32_e32 v11, 0xbf75a155, v30
	v_add_f32_e32 v9, v10, v9
	v_fma_f32 v10, v33, s6, -v23
	v_add_f32_e32 v8, v11, v8
	v_fmac_f32_e32 v22, 0xbe11bafb, v32
	v_add_f32_e32 v9, v10, v9
	v_fma_f32 v10, v35, s2, -v25
	v_mul_f32_e32 v14, 0x3e903f40, v29
	v_add_f32_e32 v8, v22, v8
	v_add_f32_e32 v9, v10, v9
	v_fma_f32 v10, v26, s12, -v14
	v_mul_f32_e32 v22, 0x3f68dda4, v19
	v_add_f32_e32 v10, v10, v13
	v_mul_f32_e32 v13, 0x3e903f40, v28
	v_fma_f32 v23, v30, s7, -v22
	v_fmac_f32_e32 v24, 0x3f575c64, v34
	v_mov_b32_e32 v11, v13
	v_add_f32_e32 v10, v23, v10
	v_mul_f32_e32 v23, 0x3f68dda4, v18
	v_add_f32_e32 v8, v24, v8
	v_fmac_f32_e32 v11, 0xbf75a155, v27
	v_mov_b32_e32 v24, v23
	v_add_f32_e32 v11, v11, v41
	v_fmac_f32_e32 v24, 0x3ed4b147, v31
	v_add_f32_e32 v11, v24, v11
	v_mul_f32_e32 v24, 0xbf0a6770, v17
	v_mov_b32_e32 v39, v25
	v_fma_f32 v25, v32, s2, -v24
	v_add_f32_e32 v10, v25, v10
	v_mul_f32_e32 v25, 0xbf0a6770, v16
	v_mov_b32_e32 v38, v25
	v_fmac_f32_e32 v38, 0x3f575c64, v33
	v_fmac_f32_e32 v39, 0x3f575c64, v35
	v_add_f32_e32 v11, v38, v11
	v_mul_f32_e32 v38, 0xbf4178ce, v37
	v_fmac_f32_e32 v14, 0xbf75a155, v26
	v_fma_f32 v13, v27, s12, -v13
	v_add_f32_e32 v7, v39, v7
	v_fma_f32 v39, v34, s3, -v38
	v_add_f32_e32 v12, v14, v12
	v_add_f32_e32 v13, v13, v40
	v_fma_f32 v14, v31, s7, -v23
	v_add_f32_e32 v10, v39, v10
	v_mul_f32_e32 v39, 0xbf4178ce, v36
	v_fmac_f32_e32 v22, 0x3ed4b147, v30
	v_add_f32_e32 v13, v14, v13
	v_fma_f32 v14, v33, s2, -v25
	v_add_f32_e32 v12, v22, v12
	v_fmac_f32_e32 v24, 0x3f575c64, v32
	v_add_f32_e32 v13, v14, v13
	v_fma_f32 v14, v35, s3, -v39
	v_mul_f32_e32 v22, 0x3f7d64f0, v29
	v_add_f32_e32 v12, v24, v12
	v_add_f32_e32 v13, v14, v13
	v_fma_f32 v14, v26, s6, -v22
	v_mul_f32_e32 v24, 0xbf0a6770, v19
	v_add_f32_e32 v14, v14, v15
	v_mul_f32_e32 v23, 0x3f7d64f0, v28
	v_fma_f32 v25, v30, s2, -v24
	v_fmac_f32_e32 v38, 0xbf27a4f4, v34
	v_mov_b32_e32 v15, v23
	v_add_f32_e32 v14, v25, v14
	v_mul_f32_e32 v25, 0xbf0a6770, v18
	v_add_f32_e32 v12, v38, v12
	v_fmac_f32_e32 v15, 0xbe11bafb, v27
	v_mov_b32_e32 v38, v25
	v_add_f32_e32 v15, v15, v43
	v_fmac_f32_e32 v38, 0x3f575c64, v31
	v_add_f32_e32 v15, v38, v15
	v_mul_f32_e32 v38, 0xbe903f40, v17
	v_mov_b32_e32 v41, v39
	v_fma_f32 v39, v32, s12, -v38
	v_add_f32_e32 v14, v39, v14
	v_mul_f32_e32 v39, 0xbe903f40, v16
	v_mov_b32_e32 v40, v39
	v_fmac_f32_e32 v40, 0xbf75a155, v33
	v_fmac_f32_e32 v41, 0xbf27a4f4, v35
	v_add_f32_e32 v15, v40, v15
	v_mul_f32_e32 v40, 0x3f68dda4, v37
	v_add_f32_e32 v11, v41, v11
	v_fma_f32 v41, v34, s7, -v40
	v_fmac_f32_e32 v22, 0xbe11bafb, v26
	v_add_f32_e32 v14, v41, v14
	v_mul_f32_e32 v41, 0x3f68dda4, v36
	v_add_f32_e32 v22, v22, v45
	v_fma_f32 v23, v27, s6, -v23
	v_mul_f32_e32 v29, 0x3f0a6770, v29
	v_fmac_f32_e32 v24, 0x3f575c64, v30
	v_mov_b32_e32 v43, v41
	v_add_f32_e32 v23, v23, v42
	v_fma_f32 v42, v26, s2, -v29
	v_fmac_f32_e32 v29, 0x3f575c64, v26
	v_add_f32_e32 v22, v24, v22
	v_fma_f32 v24, v31, s2, -v25
	v_mul_f32_e32 v19, 0xbf4178ce, v19
	v_fmac_f32_e32 v43, 0x3ed4b147, v35
	v_mul_f32_e32 v28, 0x3f0a6770, v28
	v_add_f32_e32 v26, v29, v47
	v_add_f32_e32 v23, v24, v23
	v_fma_f32 v24, v30, s3, -v19
	v_fmac_f32_e32 v19, 0xbf27a4f4, v30
	v_add_f32_e32 v15, v43, v15
	v_add_f32_e32 v42, v42, v46
	v_mov_b32_e32 v43, v28
	v_mul_f32_e32 v18, 0xbf4178ce, v18
	v_add_f32_e32 v19, v19, v26
	v_fma_f32 v26, v33, s12, -v39
	v_mul_f32_e32 v17, 0x3f68dda4, v17
	v_fmac_f32_e32 v43, 0x3f575c64, v27
	v_fma_f32 v27, v27, s2, -v28
	v_add_f32_e32 v24, v24, v42
	v_mov_b32_e32 v25, v18
	v_add_f32_e32 v23, v26, v23
	v_fma_f32 v26, v32, s7, -v17
	v_mul_f32_e32 v16, 0x3f68dda4, v16
	v_add_f32_e32 v43, v43, v44
	v_add_f32_e32 v27, v27, v48
	v_fmac_f32_e32 v25, 0xbf27a4f4, v31
	v_fma_f32 v18, v31, s3, -v18
	v_fmac_f32_e32 v38, 0xbf75a155, v32
	v_add_f32_e32 v24, v26, v24
	v_mov_b32_e32 v26, v16
	v_add_f32_e32 v25, v25, v43
	v_add_f32_e32 v18, v18, v27
	;; [unrolled: 1-line block ×3, first 2 shown]
	v_fmac_f32_e32 v26, 0x3ed4b147, v33
	v_fmac_f32_e32 v17, 0x3ed4b147, v32
	v_fma_f32 v16, v33, s7, -v16
	v_fmac_f32_e32 v40, 0x3ed4b147, v34
	v_add_f32_e32 v25, v26, v25
	v_add_f32_e32 v26, v17, v19
	;; [unrolled: 1-line block ×4, first 2 shown]
	v_fma_f32 v17, v35, s7, -v41
	v_mul_f32_e32 v22, 0xbf7d64f0, v37
	v_add_f32_e32 v17, v17, v23
	v_fma_f32 v18, v34, s6, -v22
	v_mul_f32_e32 v23, 0xbf7d64f0, v36
	v_add_f32_e32 v18, v18, v24
	v_mov_b32_e32 v19, v23
	v_mul_lo_u16_e32 v24, 11, v98
	v_fmac_f32_e32 v19, 0xbe11bafb, v35
	v_fmac_f32_e32 v22, 0xbe11bafb, v34
	v_fma_f32 v23, v35, s6, -v23
	v_lshlrev_b32_e32 v55, 3, v24
	v_add_f32_e32 v19, v19, v25
	v_add_f32_e32 v22, v22, v26
	v_add_f32_e32 v23, v23, v27
	s_waitcnt lgkmcnt(0)
	; wave barrier
	ds_write2_b64 v55, v[2:3], v[4:5] offset1:1
	ds_write2_b64 v55, v[6:7], v[10:11] offset0:2 offset1:3
	ds_write2_b64 v55, v[14:15], v[18:19] offset0:4 offset1:5
	ds_write2_b64 v55, v[22:23], v[16:17] offset0:6 offset1:7
	ds_write2_b64 v55, v[12:13], v[8:9] offset0:8 offset1:9
	ds_write_b64 v55, v[20:21] offset:80
	s_waitcnt lgkmcnt(0)
	; wave barrier
	s_waitcnt lgkmcnt(0)
	ds_read2_b64 v[28:31], v97 offset1:55
	ds_read2_b64 v[48:51], v97 offset0:121 offset1:176
	ds_read2_b64 v[36:39], v1 offset0:114 offset1:169
	;; [unrolled: 1-line block ×3, first 2 shown]
	v_add_u32_e32 v1, 0xc00, v97
	s_load_dwordx2 s[2:3], s[4:5], 0x38
	ds_read2_b64 v[44:47], v1 offset0:100 offset1:155
                                        ; implicit-def: $vgpr32
	s_and_saveexec_b64 s[4:5], vcc
	s_cbranch_execz .LBB0_3
; %bb.2:
	ds_read2_b64 v[20:23], v97 offset0:110 offset1:231
	ds_read2_b64 v[32:35], v0 offset0:96 offset1:217
	ds_read_b64 v[52:53], v97 offset:4752
.LBB0_3:
	s_or_b64 exec, exec, s[4:5]
	s_movk_i32 s4, 0x75
	v_mul_lo_u16_sdwa v0, v98, s4 dst_sel:DWORD dst_unused:UNUSED_PAD src0_sel:BYTE_0 src1_sel:DWORD
	v_sub_u16_sdwa v1, v98, v0 dst_sel:DWORD dst_unused:UNUSED_PAD src0_sel:DWORD src1_sel:BYTE_1
	v_lshrrev_b16_e32 v1, 1, v1
	v_and_b32_e32 v1, 0x7f, v1
	v_add_u16_sdwa v0, v1, v0 dst_sel:DWORD dst_unused:UNUSED_PAD src0_sel:DWORD src1_sel:BYTE_1
	v_lshrrev_b16_e32 v64, 3, v0
	v_mul_lo_u16_e32 v0, 11, v64
	v_sub_u16_e32 v0, v98, v0
	v_and_b32_e32 v65, 0xff, v0
	v_lshlrev_b32_e32 v0, 5, v65
	global_load_dwordx4 v[8:11], v0, s[14:15] offset:16
	global_load_dwordx4 v[12:15], v0, s[14:15]
	v_add_u16_e32 v0, 55, v98
	v_mul_lo_u16_sdwa v1, v0, s4 dst_sel:DWORD dst_unused:UNUSED_PAD src0_sel:BYTE_0 src1_sel:DWORD
	v_sub_u16_sdwa v2, v0, v1 dst_sel:DWORD dst_unused:UNUSED_PAD src0_sel:DWORD src1_sel:BYTE_1
	v_lshrrev_b16_e32 v2, 1, v2
	v_and_b32_e32 v2, 0x7f, v2
	v_add_u16_sdwa v1, v2, v1 dst_sel:DWORD dst_unused:UNUSED_PAD src0_sel:DWORD src1_sel:BYTE_1
	v_lshrrev_b16_e32 v66, 3, v1
	v_mul_lo_u16_e32 v1, 11, v66
	v_sub_u16_e32 v0, v0, v1
	v_and_b32_e32 v67, 0xff, v0
	v_lshlrev_b32_e32 v0, 5, v67
	global_load_dwordx4 v[24:27], v0, s[14:15]
	global_load_dwordx4 v[16:19], v0, s[14:15] offset:16
	v_add_u16_e32 v0, 0x6e, v98
	v_mul_lo_u16_sdwa v1, v0, s4 dst_sel:DWORD dst_unused:UNUSED_PAD src0_sel:BYTE_0 src1_sel:DWORD
	v_sub_u16_sdwa v2, v0, v1 dst_sel:DWORD dst_unused:UNUSED_PAD src0_sel:DWORD src1_sel:BYTE_1
	v_lshrrev_b16_e32 v2, 1, v2
	v_and_b32_e32 v2, 0x7f, v2
	v_add_u16_sdwa v1, v2, v1 dst_sel:DWORD dst_unused:UNUSED_PAD src0_sel:DWORD src1_sel:BYTE_1
	v_lshrrev_b16_e32 v1, 3, v1
	v_mul_lo_u16_e32 v1, 11, v1
	v_sub_u16_e32 v99, v0, v1
	v_lshlrev_b16_e32 v0, 2, v99
	v_and_b32_e32 v0, 0xfc, v0
	v_lshlrev_b32_e32 v56, 3, v0
	global_load_dwordx4 v[4:7], v56, s[14:15]
	global_load_dwordx4 v[0:3], v56, s[14:15] offset:16
	s_waitcnt lgkmcnt(0)
	; wave barrier
	s_waitcnt vmcnt(5) lgkmcnt(0)
	v_mul_f32_e32 v60, v41, v9
	s_waitcnt vmcnt(4)
	v_mul_f32_e32 v58, v37, v15
	v_mul_f32_e32 v59, v36, v15
	;; [unrolled: 1-line block ×5, first 2 shown]
	v_fma_f32 v36, v36, v14, -v58
	v_fmac_f32_e32 v59, v37, v14
	v_fma_f32 v37, v40, v8, -v60
	v_mul_f32_e32 v57, v48, v13
	v_mul_f32_e32 v61, v40, v9
	v_fma_f32 v48, v48, v12, -v56
	s_waitcnt vmcnt(3)
	v_mul_f32_e32 v68, v51, v25
	s_waitcnt vmcnt(2)
	v_mul_f32_e32 v96, v42, v17
	v_mul_f32_e32 v95, v43, v17
	v_fmac_f32_e32 v96, v43, v16
	v_mul_f32_e32 v69, v50, v25
	v_mul_f32_e32 v101, v46, v19
	v_fma_f32 v68, v50, v24, -v68
	v_fma_f32 v50, v44, v10, -v62
	v_fmac_f32_e32 v63, v45, v10
	v_mul_f32_e32 v100, v47, v19
	v_fmac_f32_e32 v57, v49, v12
	v_fmac_f32_e32 v61, v41, v8
	;; [unrolled: 1-line block ×3, first 2 shown]
	s_waitcnt vmcnt(1)
	v_mul_f32_e32 v43, v33, v7
	v_mul_f32_e32 v40, v32, v7
	s_waitcnt vmcnt(0)
	v_mul_f32_e32 v44, v35, v1
	v_mul_f32_e32 v45, v53, v3
	v_fma_f32 v32, v32, v6, -v43
	v_add_f32_e32 v43, v36, v37
	v_mul_f32_e32 v41, v34, v1
	v_fmac_f32_e32 v40, v33, v6
	v_fma_f32 v33, v34, v0, -v44
	v_fma_f32 v34, v52, v2, -v45
	v_sub_f32_e32 v45, v48, v36
	v_sub_f32_e32 v47, v50, v37
	v_fma_f32 v43, -0.5, v43, v28
	v_mul_f32_e32 v70, v39, v27
	v_sub_f32_e32 v44, v57, v63
	v_add_f32_e32 v47, v45, v47
	v_mov_b32_e32 v45, v43
	v_mul_f32_e32 v71, v38, v27
	v_fma_f32 v38, v38, v26, -v70
	v_fma_f32 v70, v46, v18, -v100
	v_sub_f32_e32 v46, v59, v61
	v_fmac_f32_e32 v45, 0x3f737871, v44
	v_fmac_f32_e32 v43, 0xbf737871, v44
	v_fmac_f32_e32 v45, 0x3f167918, v46
	v_fmac_f32_e32 v43, 0xbf167918, v46
	v_fmac_f32_e32 v45, 0x3e9e377a, v47
	v_fmac_f32_e32 v43, 0x3e9e377a, v47
	v_add_f32_e32 v47, v48, v50
	v_fmac_f32_e32 v41, v35, v0
	v_add_f32_e32 v35, v28, v48
	v_fma_f32 v47, -0.5, v47, v28
	v_sub_f32_e32 v28, v36, v48
	v_sub_f32_e32 v49, v37, v50
	v_add_f32_e32 v28, v28, v49
	v_mov_b32_e32 v49, v47
	v_fmac_f32_e32 v49, 0xbf737871, v46
	v_fmac_f32_e32 v47, 0x3f737871, v46
	;; [unrolled: 1-line block ×6, first 2 shown]
	v_add_f32_e32 v28, v29, v57
	v_add_f32_e32 v28, v28, v59
	;; [unrolled: 1-line block ×3, first 2 shown]
	v_fmac_f32_e32 v71, v39, v26
	v_fma_f32 v39, v42, v16, -v95
	v_mul_f32_e32 v42, v52, v3
	v_add_f32_e32 v52, v28, v63
	v_add_f32_e32 v28, v59, v61
	;; [unrolled: 1-line block ×3, first 2 shown]
	v_fma_f32 v44, -0.5, v28, v29
	v_add_f32_e32 v35, v35, v37
	v_sub_f32_e32 v28, v48, v50
	v_mov_b32_e32 v46, v44
	v_fmac_f32_e32 v69, v51, v24
	v_add_f32_e32 v51, v35, v50
	v_fmac_f32_e32 v46, 0xbf737871, v28
	v_sub_f32_e32 v35, v36, v37
	v_sub_f32_e32 v36, v57, v59
	v_sub_f32_e32 v37, v63, v61
	v_fmac_f32_e32 v44, 0x3f737871, v28
	v_fmac_f32_e32 v46, 0xbf167918, v35
	v_add_f32_e32 v36, v36, v37
	v_fmac_f32_e32 v44, 0x3f167918, v35
	v_fmac_f32_e32 v46, 0x3e9e377a, v36
	;; [unrolled: 1-line block ×3, first 2 shown]
	v_add_f32_e32 v36, v57, v63
	v_fma_f32 v48, -0.5, v36, v29
	v_mov_b32_e32 v50, v48
	v_fmac_f32_e32 v50, 0x3f737871, v35
	v_fmac_f32_e32 v48, 0xbf737871, v35
	;; [unrolled: 1-line block ×4, first 2 shown]
	v_add_f32_e32 v28, v38, v39
	v_sub_f32_e32 v29, v59, v57
	v_sub_f32_e32 v36, v61, v63
	v_fma_f32 v56, -0.5, v28, v30
	v_add_f32_e32 v29, v29, v36
	v_sub_f32_e32 v36, v69, v101
	v_mov_b32_e32 v58, v56
	v_fmac_f32_e32 v50, 0x3e9e377a, v29
	v_fmac_f32_e32 v48, 0x3e9e377a, v29
	;; [unrolled: 1-line block ×3, first 2 shown]
	v_sub_f32_e32 v28, v71, v96
	v_sub_f32_e32 v29, v68, v38
	;; [unrolled: 1-line block ×3, first 2 shown]
	v_fmac_f32_e32 v56, 0xbf737871, v36
	v_fmac_f32_e32 v58, 0x3f167918, v28
	v_add_f32_e32 v29, v29, v37
	v_fmac_f32_e32 v56, 0xbf167918, v28
	v_fmac_f32_e32 v58, 0x3e9e377a, v29
	;; [unrolled: 1-line block ×3, first 2 shown]
	v_add_f32_e32 v29, v68, v70
	v_add_f32_e32 v35, v30, v68
	v_fma_f32 v30, -0.5, v29, v30
	v_mul_f32_e32 v62, v23, v5
	v_sub_f32_e32 v29, v38, v68
	v_sub_f32_e32 v37, v39, v70
	v_mov_b32_e32 v60, v30
	v_add_f32_e32 v37, v29, v37
	v_fmac_f32_e32 v60, 0xbf737871, v28
	v_fmac_f32_e32 v30, 0x3f737871, v28
	v_mul_f32_e32 v29, v22, v5
	v_fma_f32 v28, v22, v4, -v62
	v_add_f32_e32 v22, v35, v38
	v_add_f32_e32 v22, v22, v39
	;; [unrolled: 1-line block ×8, first 2 shown]
	v_fma_f32 v57, -0.5, v22, v31
	v_sub_f32_e32 v22, v68, v70
	v_mov_b32_e32 v59, v57
	v_fmac_f32_e32 v29, v23, v4
	v_fmac_f32_e32 v60, 0x3f167918, v36
	;; [unrolled: 1-line block ×4, first 2 shown]
	v_sub_f32_e32 v23, v38, v39
	v_sub_f32_e32 v35, v69, v71
	;; [unrolled: 1-line block ×3, first 2 shown]
	v_fmac_f32_e32 v57, 0x3f737871, v22
	v_fmac_f32_e32 v59, 0xbf167918, v23
	v_add_f32_e32 v35, v35, v36
	v_fmac_f32_e32 v57, 0x3f167918, v23
	v_fmac_f32_e32 v59, 0x3e9e377a, v35
	;; [unrolled: 1-line block ×3, first 2 shown]
	v_add_f32_e32 v35, v69, v101
	v_fmac_f32_e32 v31, -0.5, v35
	v_mov_b32_e32 v61, v31
	v_fmac_f32_e32 v61, 0x3f737871, v23
	v_fmac_f32_e32 v31, 0xbf737871, v23
	;; [unrolled: 1-line block ×4, first 2 shown]
	v_add_f32_e32 v22, v32, v33
	v_fmac_f32_e32 v42, v53, v2
	v_sub_f32_e32 v35, v71, v69
	v_sub_f32_e32 v36, v96, v101
	v_fma_f32 v95, -0.5, v22, v20
	v_add_f32_e32 v35, v35, v36
	v_sub_f32_e32 v23, v29, v42
	v_mov_b32_e32 v22, v95
	v_fmac_f32_e32 v60, 0x3e9e377a, v37
	v_fmac_f32_e32 v30, 0x3e9e377a, v37
	;; [unrolled: 1-line block ×5, first 2 shown]
	v_sub_f32_e32 v35, v28, v32
	v_sub_f32_e32 v36, v34, v33
	;; [unrolled: 1-line block ×3, first 2 shown]
	v_fmac_f32_e32 v95, 0xbf737871, v23
	v_add_f32_e32 v35, v35, v36
	v_fmac_f32_e32 v22, 0x3f167918, v37
	v_fmac_f32_e32 v95, 0xbf167918, v37
	;; [unrolled: 1-line block ×4, first 2 shown]
	v_sub_f32_e32 v35, v32, v28
	v_sub_f32_e32 v36, v33, v34
	v_add_f32_e32 v35, v35, v36
	v_add_f32_e32 v36, v28, v34
	v_fma_f32 v38, -0.5, v36, v20
	v_mov_b32_e32 v36, v38
	v_fmac_f32_e32 v36, 0xbf737871, v37
	v_fmac_f32_e32 v38, 0x3f737871, v37
	;; [unrolled: 1-line block ×4, first 2 shown]
	v_add_f32_e32 v23, v40, v41
	v_fmac_f32_e32 v36, 0x3e9e377a, v35
	v_fmac_f32_e32 v38, 0x3e9e377a, v35
	v_fma_f32 v96, -0.5, v23, v21
	v_sub_f32_e32 v23, v29, v40
	v_sub_f32_e32 v35, v42, v41
	v_add_f32_e32 v35, v23, v35
	v_mov_b32_e32 v23, v96
	v_sub_f32_e32 v53, v28, v34
	v_fmac_f32_e32 v23, 0xbf737871, v53
	v_sub_f32_e32 v68, v32, v33
	v_fmac_f32_e32 v96, 0x3f737871, v53
	v_fmac_f32_e32 v23, 0xbf167918, v68
	;; [unrolled: 1-line block ×5, first 2 shown]
	v_add_f32_e32 v35, v29, v42
	v_fma_f32 v39, -0.5, v35, v21
	v_sub_f32_e32 v35, v40, v29
	v_sub_f32_e32 v37, v41, v42
	v_add_f32_e32 v35, v35, v37
	v_mov_b32_e32 v37, v39
	v_fmac_f32_e32 v37, 0x3f737871, v68
	v_fmac_f32_e32 v39, 0xbf737871, v68
	;; [unrolled: 1-line block ×6, first 2 shown]
	v_mul_u32_u24_e32 v35, 55, v64
	v_add_lshl_u32 v100, v35, v65, 3
	v_mul_u32_u24_e32 v35, 55, v66
	v_add_lshl_u32 v101, v35, v67, 3
	ds_write2_b64 v100, v[51:52], v[45:46] offset1:11
	ds_write2_b64 v100, v[49:50], v[47:48] offset0:22 offset1:33
	ds_write_b64 v100, v[43:44] offset:352
	ds_write2_b64 v101, v[62:63], v[58:59] offset1:11
	ds_write2_b64 v101, v[60:61], v[30:31] offset0:22 offset1:33
	ds_write_b64 v101, v[56:57] offset:352
	s_and_saveexec_b64 s[4:5], vcc
	s_cbranch_execz .LBB0_5
; %bb.4:
	v_add_f32_e32 v21, v21, v29
	v_add_f32_e32 v20, v20, v28
	;; [unrolled: 1-line block ×4, first 2 shown]
	v_mov_b32_e32 v28, 3
	v_add_f32_e32 v21, v21, v41
	v_add_f32_e32 v20, v20, v33
	v_lshlrev_b32_sdwa v28, v28, v99 dst_sel:DWORD dst_unused:UNUSED_PAD src0_sel:DWORD src1_sel:BYTE_0
	v_add_f32_e32 v21, v21, v42
	v_add_f32_e32 v20, v20, v34
	v_add_u32_e32 v29, 0x1000, v28
	ds_write2_b64 v29, v[20:21], v[22:23] offset0:38 offset1:49
	ds_write2_b64 v29, v[36:37], v[38:39] offset0:60 offset1:71
	ds_write_b64 v28, v[95:96] offset:4752
.LBB0_5:
	s_or_b64 exec, exec, s[4:5]
	v_mov_b32_e32 v21, s15
	s_movk_i32 s4, 0x50
	v_mov_b32_e32 v20, s14
	v_mad_u64_u32 v[20:21], s[4:5], v98, s4, v[20:21]
	s_waitcnt lgkmcnt(0)
	; wave barrier
	s_waitcnt lgkmcnt(0)
	global_load_dwordx4 v[44:47], v[20:21], off offset:352
	global_load_dwordx4 v[40:43], v[20:21], off offset:368
	;; [unrolled: 1-line block ×5, first 2 shown]
	ds_read2_b64 v[57:60], v97 offset1:55
	ds_read2_b64 v[61:64], v97 offset0:110 offset1:165
	ds_read_b64 v[52:53], v97 offset:4400
	v_add_u32_e32 v56, 0x400, v97
	v_add_u32_e32 v102, 0x800, v97
	ds_read2_b64 v[65:68], v56 offset0:92 offset1:147
	ds_read2_b64 v[103:106], v102 offset0:74 offset1:129
	ds_read2_b64 v[107:110], v102 offset0:184 offset1:239
	s_mov_b32 s4, 0x3f575c64
	s_mov_b32 s5, 0x3ed4b147
	;; [unrolled: 1-line block ×3, first 2 shown]
	v_mov_b32_e32 v20, s13
	v_addc_co_u32_e64 v20, s[0:1], 0, v20, s[0:1]
	s_movk_i32 s0, 0x1000
	s_movk_i32 s13, 0x12e8
	s_waitcnt vmcnt(4) lgkmcnt(5)
	v_mul_f32_e32 v21, v60, v45
	v_mul_f32_e32 v69, v59, v45
	s_waitcnt lgkmcnt(4)
	v_mul_f32_e32 v70, v62, v47
	v_mul_f32_e32 v71, v61, v47
	s_waitcnt vmcnt(2) lgkmcnt(2)
	v_mul_f32_e32 v115, v68, v33
	s_waitcnt vmcnt(0)
	v_mul_f32_e32 v126, v52, v51
	v_fma_f32 v21, v59, v44, -v21
	v_fmac_f32_e32 v69, v60, v44
	v_mul_f32_e32 v111, v64, v41
	v_mul_f32_e32 v112, v63, v41
	;; [unrolled: 1-line block ×4, first 2 shown]
	v_fma_f32 v59, v61, v46, -v70
	v_fmac_f32_e32 v71, v62, v46
	v_fma_f32 v62, v67, v32, -v115
	v_fmac_f32_e32 v126, v53, v50
	v_add_f32_e32 v53, v57, v21
	v_add_f32_e32 v67, v58, v69
	v_mul_f32_e32 v113, v66, v43
	v_mul_f32_e32 v114, v65, v43
	v_fma_f32 v60, v63, v40, -v111
	v_fmac_f32_e32 v112, v64, v40
	v_add_f32_e32 v53, v53, v59
	v_add_f32_e32 v67, v67, v71
	v_fma_f32 v61, v65, v42, -v113
	v_fmac_f32_e32 v114, v66, v42
	v_add_f32_e32 v53, v53, v60
	v_add_f32_e32 v67, v67, v112
	s_waitcnt lgkmcnt(1)
	v_mul_f32_e32 v117, v104, v35
	v_mul_f32_e32 v118, v103, v35
	v_fmac_f32_e32 v116, v68, v32
	v_add_f32_e32 v53, v53, v61
	v_add_f32_e32 v67, v67, v114
	v_mul_f32_e32 v119, v106, v29
	v_mul_f32_e32 v120, v105, v29
	v_fma_f32 v63, v103, v34, -v117
	v_fmac_f32_e32 v118, v104, v34
	v_add_f32_e32 v53, v53, v62
	v_add_f32_e32 v67, v67, v116
	s_waitcnt lgkmcnt(0)
	v_mul_f32_e32 v121, v108, v31
	v_mul_f32_e32 v122, v107, v31
	v_fma_f32 v64, v105, v28, -v119
	v_fmac_f32_e32 v120, v106, v28
	v_add_f32_e32 v53, v53, v63
	v_add_f32_e32 v67, v67, v118
	v_mul_f32_e32 v123, v110, v49
	v_mul_f32_e32 v124, v109, v49
	v_fma_f32 v65, v107, v30, -v121
	v_fmac_f32_e32 v122, v108, v30
	v_fma_f32 v52, v52, v50, -v125
	v_add_f32_e32 v53, v53, v64
	v_add_f32_e32 v67, v67, v120
	v_fma_f32 v66, v109, v48, -v123
	v_fmac_f32_e32 v124, v110, v48
	v_add_f32_e32 v68, v21, v52
	v_sub_f32_e32 v21, v21, v52
	v_add_f32_e32 v53, v53, v65
	v_add_f32_e32 v67, v67, v122
	;; [unrolled: 1-line block ×3, first 2 shown]
	v_mul_f32_e32 v104, 0xbf0a6770, v21
	v_add_f32_e32 v53, v53, v66
	v_add_f32_e32 v67, v67, v124
	v_mul_f32_e32 v108, 0xbf68dda4, v21
	v_mul_f32_e32 v113, 0xbf7d64f0, v21
	;; [unrolled: 1-line block ×4, first 2 shown]
	v_sub_f32_e32 v69, v69, v126
	v_mov_b32_e32 v106, v104
	v_fma_f32 v104, v70, s4, -v104
	v_add_f32_e32 v52, v53, v52
	v_add_f32_e32 v53, v67, v126
	v_mov_b32_e32 v109, v108
	v_mov_b32_e32 v115, v113
	;; [unrolled: 1-line block ×4, first 2 shown]
	v_mul_f32_e32 v103, 0xbf0a6770, v69
	v_fmac_f32_e32 v106, 0x3f575c64, v70
	v_add_f32_e32 v67, v58, v104
	v_mul_f32_e32 v104, 0xbf68dda4, v69
	v_fmac_f32_e32 v109, 0x3ed4b147, v70
	v_fma_f32 v108, v70, s5, -v108
	v_mul_f32_e32 v110, 0xbf7d64f0, v69
	v_fmac_f32_e32 v115, 0xbe11bafb, v70
	v_fma_f32 v113, v70, s6, -v113
	v_mul_f32_e32 v117, 0xbf4178ce, v69
	v_fmac_f32_e32 v123, 0xbf27a4f4, v70
	v_fma_f32 v121, v70, s7, -v121
	v_mul_f32_e32 v69, 0xbe903f40, v69
	v_fmac_f32_e32 v126, 0xbf75a155, v70
	v_fma_f32 v21, v70, s12, -v21
	v_fma_f32 v105, v68, s4, -v103
	v_fmac_f32_e32 v103, 0x3f575c64, v68
	v_add_f32_e32 v106, v58, v106
	v_fma_f32 v107, v68, s5, -v104
	v_add_f32_e32 v109, v58, v109
	v_fmac_f32_e32 v104, 0x3ed4b147, v68
	v_add_f32_e32 v108, v58, v108
	v_fma_f32 v111, v68, s6, -v110
	v_add_f32_e32 v115, v58, v115
	;; [unrolled: 4-line block ×4, first 2 shown]
	v_fmac_f32_e32 v69, 0xbf75a155, v68
	v_add_f32_e32 v21, v58, v21
	v_add_f32_e32 v58, v59, v66
	v_sub_f32_e32 v59, v59, v66
	v_sub_f32_e32 v66, v71, v124
	v_add_f32_e32 v105, v57, v105
	v_add_f32_e32 v103, v57, v103
	;; [unrolled: 1-line block ×10, first 2 shown]
	v_mul_f32_e32 v69, 0xbf68dda4, v66
	v_add_f32_e32 v68, v71, v124
	v_fma_f32 v70, v58, s5, -v69
	v_mul_f32_e32 v71, 0xbf68dda4, v59
	v_add_f32_e32 v70, v70, v105
	v_mov_b32_e32 v105, v71
	v_fma_f32 v71, v68, s5, -v71
	v_fmac_f32_e32 v105, 0x3ed4b147, v68
	v_fmac_f32_e32 v69, 0x3ed4b147, v58
	v_add_f32_e32 v67, v71, v67
	v_mul_f32_e32 v71, 0xbf4178ce, v66
	v_add_f32_e32 v105, v105, v106
	v_add_f32_e32 v69, v69, v103
	v_fma_f32 v103, v58, s7, -v71
	v_mul_f32_e32 v106, 0xbf4178ce, v59
	v_add_f32_e32 v103, v103, v107
	v_mov_b32_e32 v107, v106
	v_fmac_f32_e32 v71, 0xbf27a4f4, v58
	v_fmac_f32_e32 v107, 0xbf27a4f4, v68
	v_add_f32_e32 v71, v71, v104
	v_fma_f32 v104, v68, s7, -v106
	v_mul_f32_e32 v106, 0x3e903f40, v66
	v_add_f32_e32 v107, v107, v109
	v_add_f32_e32 v104, v104, v108
	v_fma_f32 v108, v58, s12, -v106
	v_mul_f32_e32 v109, 0x3e903f40, v59
	v_add_f32_e32 v108, v108, v111
	v_mov_b32_e32 v111, v109
	v_fmac_f32_e32 v106, 0xbf75a155, v58
	v_fmac_f32_e32 v111, 0xbf75a155, v68
	v_add_f32_e32 v106, v106, v110
	v_fma_f32 v109, v68, s12, -v109
	v_mul_f32_e32 v110, 0x3f7d64f0, v66
	v_add_f32_e32 v111, v111, v115
	v_add_f32_e32 v109, v109, v113
	v_fma_f32 v113, v58, s6, -v110
	v_mul_f32_e32 v115, 0x3f7d64f0, v59
	v_fmac_f32_e32 v110, 0xbe11bafb, v58
	v_mul_f32_e32 v66, 0x3f0a6770, v66
	v_mul_f32_e32 v59, 0x3f0a6770, v59
	v_add_f32_e32 v110, v110, v117
	v_fma_f32 v117, v58, s4, -v66
	v_fmac_f32_e32 v66, 0x3f575c64, v58
	v_fma_f32 v58, v68, s4, -v59
	v_add_f32_e32 v113, v113, v119
	v_mov_b32_e32 v119, v115
	v_fma_f32 v115, v68, s6, -v115
	v_add_f32_e32 v21, v58, v21
	v_add_f32_e32 v58, v60, v65
	v_sub_f32_e32 v60, v60, v65
	v_sub_f32_e32 v65, v112, v122
	v_add_f32_e32 v115, v115, v121
	v_mov_b32_e32 v121, v59
	v_add_f32_e32 v57, v66, v57
	v_mul_f32_e32 v66, 0xbf7d64f0, v65
	v_fmac_f32_e32 v119, 0xbe11bafb, v68
	v_fmac_f32_e32 v121, 0x3f575c64, v68
	v_fma_f32 v68, v58, s6, -v66
	v_add_f32_e32 v59, v112, v122
	v_add_f32_e32 v68, v68, v70
	v_mul_f32_e32 v70, 0xbf7d64f0, v60
	v_fmac_f32_e32 v66, 0xbe11bafb, v58
	v_add_f32_e32 v66, v66, v69
	v_fma_f32 v69, v59, s6, -v70
	v_add_f32_e32 v67, v69, v67
	v_mul_f32_e32 v69, 0x3e903f40, v65
	v_mov_b32_e32 v112, v70
	v_fma_f32 v70, v58, s12, -v69
	v_fmac_f32_e32 v112, 0xbe11bafb, v59
	v_add_f32_e32 v70, v70, v103
	v_mul_f32_e32 v103, 0x3e903f40, v60
	v_fmac_f32_e32 v69, 0xbf75a155, v58
	v_add_f32_e32 v105, v112, v105
	v_mov_b32_e32 v112, v103
	v_add_f32_e32 v69, v69, v71
	v_fma_f32 v71, v59, s12, -v103
	v_mul_f32_e32 v103, 0x3f68dda4, v65
	v_add_f32_e32 v71, v71, v104
	v_fma_f32 v104, v58, s5, -v103
	v_fmac_f32_e32 v112, 0xbf75a155, v59
	v_add_f32_e32 v104, v104, v108
	v_mul_f32_e32 v108, 0x3f68dda4, v60
	v_add_f32_e32 v107, v112, v107
	v_mov_b32_e32 v112, v108
	v_fmac_f32_e32 v103, 0x3ed4b147, v58
	v_fmac_f32_e32 v112, 0x3ed4b147, v59
	v_add_f32_e32 v103, v103, v106
	v_fma_f32 v106, v59, s5, -v108
	v_mul_f32_e32 v108, 0xbf0a6770, v65
	v_add_f32_e32 v111, v112, v111
	v_add_f32_e32 v106, v106, v109
	v_fma_f32 v109, v58, s4, -v108
	v_mul_f32_e32 v112, 0xbf0a6770, v60
	v_fmac_f32_e32 v108, 0x3f575c64, v58
	v_mul_f32_e32 v65, 0xbf4178ce, v65
	v_mul_f32_e32 v60, 0xbf4178ce, v60
	v_add_f32_e32 v109, v109, v113
	v_mov_b32_e32 v113, v112
	v_add_f32_e32 v108, v108, v110
	v_fma_f32 v110, v59, s4, -v112
	v_fma_f32 v112, v58, s7, -v65
	v_fmac_f32_e32 v65, 0xbf27a4f4, v58
	v_fma_f32 v58, v59, s7, -v60
	v_add_f32_e32 v110, v110, v115
	v_mov_b32_e32 v115, v60
	v_add_f32_e32 v21, v58, v21
	v_add_f32_e32 v58, v61, v64
	v_sub_f32_e32 v60, v61, v64
	v_sub_f32_e32 v61, v114, v120
	v_mul_f32_e32 v64, 0xbf4178ce, v61
	v_add_f32_e32 v57, v65, v57
	v_fma_f32 v65, v58, s7, -v64
	v_fmac_f32_e32 v113, 0x3f575c64, v59
	v_fmac_f32_e32 v115, 0xbf27a4f4, v59
	v_add_f32_e32 v59, v114, v120
	v_add_f32_e32 v65, v65, v68
	v_mul_f32_e32 v68, 0xbf4178ce, v60
	v_fmac_f32_e32 v64, 0xbf27a4f4, v58
	v_add_f32_e32 v64, v64, v66
	v_fma_f32 v66, v59, s7, -v68
	v_add_f32_e32 v66, v66, v67
	v_mul_f32_e32 v67, 0x3f7d64f0, v61
	v_mov_b32_e32 v114, v68
	v_fma_f32 v68, v58, s6, -v67
	v_fmac_f32_e32 v114, 0xbf27a4f4, v59
	v_add_f32_e32 v68, v68, v70
	v_mul_f32_e32 v70, 0x3f7d64f0, v60
	v_fmac_f32_e32 v67, 0xbe11bafb, v58
	v_add_f32_e32 v105, v114, v105
	v_mov_b32_e32 v114, v70
	v_add_f32_e32 v67, v67, v69
	v_fma_f32 v69, v59, s6, -v70
	v_mul_f32_e32 v70, 0xbf0a6770, v61
	v_add_f32_e32 v69, v69, v71
	v_fma_f32 v71, v58, s4, -v70
	v_fmac_f32_e32 v114, 0xbe11bafb, v59
	v_add_f32_e32 v71, v71, v104
	v_mul_f32_e32 v104, 0xbf0a6770, v60
	v_fmac_f32_e32 v70, 0x3f575c64, v58
	v_add_f32_e32 v107, v114, v107
	v_mov_b32_e32 v114, v104
	v_add_f32_e32 v70, v70, v103
	v_fma_f32 v103, v59, s4, -v104
	v_mul_f32_e32 v104, 0xbe903f40, v61
	v_add_f32_e32 v103, v103, v106
	v_fma_f32 v106, v58, s12, -v104
	v_add_f32_e32 v106, v106, v109
	v_mul_f32_e32 v109, 0xbe903f40, v60
	v_fmac_f32_e32 v104, 0xbf75a155, v58
	v_add_f32_e32 v104, v104, v108
	v_fma_f32 v108, v59, s12, -v109
	v_mul_f32_e32 v60, 0x3f68dda4, v60
	v_add_f32_e32 v121, v121, v126
	v_fmac_f32_e32 v114, 0x3f575c64, v59
	v_add_f32_e32 v108, v108, v110
	v_mov_b32_e32 v110, v60
	v_add_f32_e32 v119, v119, v123
	v_add_f32_e32 v115, v115, v121
	;; [unrolled: 1-line block ×3, first 2 shown]
	v_mov_b32_e32 v114, v109
	v_fmac_f32_e32 v110, 0x3ed4b147, v59
	v_add_f32_e32 v117, v117, v125
	v_add_f32_e32 v113, v113, v119
	v_fmac_f32_e32 v114, 0xbf75a155, v59
	v_mul_f32_e32 v61, 0x3f68dda4, v61
	v_add_f32_e32 v110, v110, v115
	v_add_f32_e32 v115, v116, v118
	v_sub_f32_e32 v116, v116, v118
	v_add_f32_e32 v112, v112, v117
	v_add_f32_e32 v113, v114, v113
	v_fma_f32 v109, v58, s5, -v61
	v_fmac_f32_e32 v61, 0x3ed4b147, v58
	v_add_f32_e32 v114, v62, v63
	v_sub_f32_e32 v117, v62, v63
	v_mul_f32_e32 v63, 0x3f0a6770, v116
	v_add_f32_e32 v109, v109, v112
	v_add_f32_e32 v112, v61, v57
	v_fma_f32 v57, v59, s5, -v60
	v_mul_f32_e32 v59, 0xbe903f40, v116
	v_fma_f32 v61, v114, s4, -v63
	v_fmac_f32_e32 v63, 0x3f575c64, v114
	v_add_f32_e32 v21, v57, v21
	v_fma_f32 v57, v114, s12, -v59
	v_mul_f32_e32 v60, 0xbe903f40, v117
	v_fmac_f32_e32 v59, 0xbf75a155, v114
	v_add_f32_e32 v63, v63, v67
	v_mul_f32_e32 v67, 0xbf4178ce, v116
	v_add_f32_e32 v57, v57, v65
	v_mov_b32_e32 v58, v60
	v_add_f32_e32 v59, v59, v64
	v_mul_f32_e32 v64, 0x3f0a6770, v117
	v_fma_f32 v65, v114, s7, -v67
	v_fmac_f32_e32 v58, 0xbf75a155, v115
	v_fma_f32 v60, v115, s12, -v60
	v_add_f32_e32 v61, v61, v68
	v_mov_b32_e32 v62, v64
	v_fma_f32 v64, v115, s4, -v64
	v_add_f32_e32 v65, v65, v71
	v_mul_f32_e32 v68, 0xbf4178ce, v117
	v_mul_f32_e32 v71, 0x3f68dda4, v116
	v_add_f32_e32 v58, v58, v105
	v_add_f32_e32 v60, v60, v66
	v_add_f32_e32 v64, v64, v69
	v_mov_b32_e32 v66, v68
	v_fma_f32 v68, v115, s7, -v68
	v_fma_f32 v69, v114, s5, -v71
	v_mul_f32_e32 v105, 0x3f68dda4, v117
	v_fmac_f32_e32 v71, 0x3ed4b147, v114
	v_add_f32_e32 v68, v68, v103
	v_add_f32_e32 v103, v71, v104
	v_fma_f32 v71, v115, s5, -v105
	v_fmac_f32_e32 v67, 0xbf27a4f4, v114
	v_add_f32_e32 v104, v71, v108
	v_mul_f32_e32 v71, 0xbf7d64f0, v116
	v_mul_f32_e32 v108, 0xbf7d64f0, v117
	v_fmac_f32_e32 v62, 0x3f575c64, v115
	v_add_f32_e32 v67, v67, v70
	v_add_f32_e32 v69, v69, v106
	v_mov_b32_e32 v70, v105
	v_fma_f32 v105, v114, s6, -v71
	v_mov_b32_e32 v106, v108
	v_fmac_f32_e32 v71, 0xbe11bafb, v114
	v_add_f32_e32 v62, v62, v107
	v_fmac_f32_e32 v66, 0xbf27a4f4, v115
	v_fmac_f32_e32 v70, 0x3ed4b147, v115
	;; [unrolled: 1-line block ×3, first 2 shown]
	v_add_f32_e32 v107, v71, v112
	v_fma_f32 v71, v115, s6, -v108
	v_add_f32_e32 v66, v66, v111
	v_add_f32_e32 v70, v70, v113
	;; [unrolled: 1-line block ×5, first 2 shown]
	ds_write2_b64 v97, v[52:53], v[57:58] offset1:55
	ds_write2_b64 v97, v[61:62], v[65:66] offset0:110 offset1:165
	ds_write2_b64 v56, v[69:70], v[105:106] offset0:92 offset1:147
	;; [unrolled: 1-line block ×4, first 2 shown]
	ds_write_b64 v97, v[59:60] offset:4400
	v_add_co_u32_e64 v52, s[0:1], s0, v54
	v_addc_co_u32_e64 v53, s[0:1], 0, v20, s[0:1]
	s_waitcnt lgkmcnt(0)
	; wave barrier
	s_waitcnt lgkmcnt(0)
	global_load_dwordx2 v[52:53], v[52:53], off offset:744
	v_add_co_u32_e64 v57, s[0:1], s13, v54
	v_addc_co_u32_e64 v58, s[0:1], 0, v20, s[0:1]
	global_load_dwordx2 v[61:62], v[57:58], off offset:440
	global_load_dwordx2 v[63:64], v[57:58], off offset:880
	;; [unrolled: 1-line block ×8, first 2 shown]
	s_movk_i32 s0, 0x2000
	v_add_co_u32_e64 v59, s[0:1], s0, v54
	v_addc_co_u32_e64 v60, s[0:1], 0, v20, s[0:1]
	global_load_dwordx2 v[20:21], v[59:60], off offset:1048
	global_load_dwordx2 v[109:110], v[57:58], off offset:3960
	ds_read2_b64 v[57:60], v97 offset1:55
	s_waitcnt vmcnt(10) lgkmcnt(0)
	v_mul_f32_e32 v54, v58, v53
	v_mul_f32_e32 v112, v57, v53
	v_fma_f32 v111, v57, v52, -v54
	v_fmac_f32_e32 v112, v58, v52
	s_waitcnt vmcnt(9)
	v_mul_f32_e32 v52, v60, v62
	v_mul_f32_e32 v53, v59, v62
	v_fma_f32 v52, v59, v61, -v52
	v_fmac_f32_e32 v53, v60, v61
	ds_write2_b64 v97, v[111:112], v[52:53] offset1:55
	ds_read2_b64 v[57:60], v97 offset0:110 offset1:165
	s_waitcnt vmcnt(8) lgkmcnt(0)
	v_mul_f32_e32 v52, v58, v64
	v_mul_f32_e32 v53, v57, v64
	v_fma_f32 v52, v57, v63, -v52
	v_fmac_f32_e32 v53, v58, v63
	ds_read2_b64 v[61:64], v56 offset0:92 offset1:147
	s_waitcnt vmcnt(7)
	v_mul_f32_e32 v54, v60, v66
	v_mul_f32_e32 v58, v59, v66
	v_fma_f32 v57, v59, v65, -v54
	v_fmac_f32_e32 v58, v60, v65
	ds_write2_b64 v97, v[52:53], v[57:58] offset0:110 offset1:165
	ds_read2_b64 v[57:60], v102 offset0:74 offset1:129
	s_waitcnt vmcnt(6) lgkmcnt(2)
	v_mul_f32_e32 v53, v61, v68
	v_mul_f32_e32 v52, v62, v68
	v_fmac_f32_e32 v53, v62, v67
	s_waitcnt vmcnt(5)
	v_mul_f32_e32 v54, v64, v70
	v_mul_f32_e32 v62, v63, v70
	v_fma_f32 v52, v61, v67, -v52
	v_fma_f32 v61, v63, v69, -v54
	v_fmac_f32_e32 v62, v64, v69
	ds_write2_b64 v56, v[52:53], v[61:62] offset0:92 offset1:147
	s_waitcnt vmcnt(4) lgkmcnt(1)
	v_mul_f32_e32 v53, v57, v104
	v_mul_f32_e32 v52, v58, v104
	v_fmac_f32_e32 v53, v58, v103
	s_waitcnt vmcnt(3)
	v_mul_f32_e32 v54, v60, v106
	ds_read2_b64 v[61:64], v102 offset0:184 offset1:239
	v_mul_f32_e32 v58, v59, v106
	v_fma_f32 v52, v57, v103, -v52
	v_fma_f32 v57, v59, v105, -v54
	v_fmac_f32_e32 v58, v60, v105
	ds_write2_b64 v102, v[52:53], v[57:58] offset0:74 offset1:129
	ds_read_b64 v[57:58], v97 offset:4400
	s_waitcnt vmcnt(2) lgkmcnt(2)
	v_mul_f32_e32 v52, v62, v108
	v_mul_f32_e32 v53, v61, v108
	s_waitcnt vmcnt(0)
	v_mul_f32_e32 v54, v64, v110
	v_mul_f32_e32 v60, v63, v110
	v_fma_f32 v52, v61, v107, -v52
	v_fmac_f32_e32 v53, v62, v107
	v_fma_f32 v59, v63, v109, -v54
	v_fmac_f32_e32 v60, v64, v109
	ds_write2_b64 v102, v[52:53], v[59:60] offset0:184 offset1:239
	s_waitcnt lgkmcnt(1)
	v_mul_f32_e32 v52, v58, v21
	v_mul_f32_e32 v53, v57, v21
	v_fma_f32 v52, v57, v20, -v52
	v_fmac_f32_e32 v53, v58, v20
	ds_write_b64 v97, v[52:53] offset:4400
	s_waitcnt lgkmcnt(0)
	; wave barrier
	s_waitcnt lgkmcnt(0)
	ds_read2_b64 v[57:60], v97 offset1:55
	ds_read2_b64 v[61:64], v97 offset0:110 offset1:165
	ds_read2_b64 v[65:68], v56 offset0:92 offset1:147
	;; [unrolled: 1-line block ×4, first 2 shown]
	ds_read_b64 v[20:21], v97 offset:4400
	s_waitcnt lgkmcnt(5)
	v_add_f32_e32 v53, v58, v60
	v_add_f32_e32 v52, v57, v59
	s_waitcnt lgkmcnt(4)
	v_add_f32_e32 v53, v53, v62
	v_add_f32_e32 v52, v52, v61
	v_add_f32_e32 v53, v53, v64
	v_add_f32_e32 v52, v52, v63
	s_waitcnt lgkmcnt(3)
	v_add_f32_e32 v53, v53, v66
	v_add_f32_e32 v52, v52, v65
	;; [unrolled: 5-line block ×4, first 2 shown]
	v_add_f32_e32 v53, v53, v110
	s_waitcnt lgkmcnt(0)
	v_add_f32_e32 v69, v21, v60
	v_add_f32_e32 v52, v52, v109
	;; [unrolled: 1-line block ×3, first 2 shown]
	v_sub_f32_e32 v21, v60, v21
	v_mul_f32_e32 v70, 0x3f575c64, v69
	v_mul_f32_e32 v113, 0x3ed4b147, v69
	;; [unrolled: 1-line block ×5, first 2 shown]
	v_add_f32_e32 v52, v52, v20
	v_add_f32_e32 v54, v20, v59
	v_sub_f32_e32 v20, v59, v20
	v_mul_f32_e32 v59, 0xbf0a6770, v21
	v_mov_b32_e32 v71, v70
	v_mul_f32_e32 v111, 0xbf68dda4, v21
	v_mov_b32_e32 v114, v113
	;; [unrolled: 2-line block ×5, first 2 shown]
	v_mov_b32_e32 v60, v59
	v_fmac_f32_e32 v71, 0x3f0a6770, v20
	v_fmac_f32_e32 v70, 0xbf0a6770, v20
	v_mov_b32_e32 v112, v111
	v_fmac_f32_e32 v114, 0x3f68dda4, v20
	v_fmac_f32_e32 v113, 0xbf68dda4, v20
	v_mov_b32_e32 v116, v115
	v_fmac_f32_e32 v118, 0x3f7d64f0, v20
	v_fmac_f32_e32 v117, 0xbf7d64f0, v20
	v_mov_b32_e32 v120, v119
	v_fmac_f32_e32 v122, 0x3f4178ce, v20
	v_fmac_f32_e32 v121, 0xbf4178ce, v20
	v_mov_b32_e32 v123, v21
	v_fmac_f32_e32 v124, 0x3e903f40, v20
	v_fmac_f32_e32 v69, 0xbe903f40, v20
	v_fmac_f32_e32 v60, 0x3f575c64, v54
	v_add_f32_e32 v71, v58, v71
	v_fma_f32 v59, v54, s4, -v59
	v_add_f32_e32 v70, v58, v70
	v_fmac_f32_e32 v112, 0x3ed4b147, v54
	v_add_f32_e32 v114, v58, v114
	v_fma_f32 v111, v54, s5, -v111
	v_add_f32_e32 v113, v58, v113
	;; [unrolled: 4-line block ×5, first 2 shown]
	v_add_f32_e32 v54, v109, v61
	v_sub_f32_e32 v58, v61, v109
	v_sub_f32_e32 v61, v62, v110
	v_add_f32_e32 v60, v57, v60
	v_add_f32_e32 v59, v57, v59
	;; [unrolled: 1-line block ×11, first 2 shown]
	v_mul_f32_e32 v62, 0xbf68dda4, v61
	v_mov_b32_e32 v69, v62
	v_fmac_f32_e32 v69, 0x3ed4b147, v54
	v_add_f32_e32 v60, v69, v60
	v_mul_f32_e32 v69, 0x3ed4b147, v57
	v_mov_b32_e32 v109, v69
	v_fma_f32 v62, v54, s5, -v62
	v_fmac_f32_e32 v69, 0xbf68dda4, v58
	v_add_f32_e32 v59, v62, v59
	v_add_f32_e32 v62, v69, v70
	v_mul_f32_e32 v69, 0xbf4178ce, v61
	v_fmac_f32_e32 v109, 0x3f68dda4, v58
	v_mov_b32_e32 v70, v69
	v_fma_f32 v69, v54, s7, -v69
	v_add_f32_e32 v71, v109, v71
	v_fmac_f32_e32 v70, 0xbf27a4f4, v54
	v_mul_f32_e32 v109, 0xbf27a4f4, v57
	v_add_f32_e32 v69, v69, v111
	v_mul_f32_e32 v111, 0x3e903f40, v61
	v_add_f32_e32 v70, v70, v112
	v_mov_b32_e32 v110, v109
	v_fmac_f32_e32 v109, 0xbf4178ce, v58
	v_mov_b32_e32 v112, v111
	v_fma_f32 v111, v54, s12, -v111
	v_fmac_f32_e32 v110, 0x3f4178ce, v58
	v_add_f32_e32 v109, v109, v113
	v_fmac_f32_e32 v112, 0xbf75a155, v54
	v_mul_f32_e32 v113, 0xbf75a155, v57
	v_add_f32_e32 v111, v111, v115
	v_mul_f32_e32 v115, 0x3f7d64f0, v61
	v_add_f32_e32 v110, v110, v114
	v_add_f32_e32 v112, v112, v116
	v_mov_b32_e32 v114, v113
	v_fmac_f32_e32 v113, 0x3e903f40, v58
	v_mov_b32_e32 v116, v115
	v_fma_f32 v115, v54, s6, -v115
	v_mul_f32_e32 v61, 0x3f0a6770, v61
	v_fmac_f32_e32 v114, 0xbe903f40, v58
	v_add_f32_e32 v113, v113, v117
	v_fmac_f32_e32 v116, 0xbe11bafb, v54
	v_mul_f32_e32 v117, 0xbe11bafb, v57
	v_add_f32_e32 v115, v115, v119
	v_mov_b32_e32 v119, v61
	v_mul_f32_e32 v57, 0x3f575c64, v57
	v_add_f32_e32 v114, v114, v118
	v_add_f32_e32 v116, v116, v120
	v_mov_b32_e32 v118, v117
	v_fmac_f32_e32 v119, 0x3f575c64, v54
	v_mov_b32_e32 v120, v57
	v_fma_f32 v54, v54, s4, -v61
	v_sub_f32_e32 v61, v64, v108
	v_fmac_f32_e32 v118, 0xbf7d64f0, v58
	v_fmac_f32_e32 v117, 0x3f7d64f0, v58
	;; [unrolled: 1-line block ×3, first 2 shown]
	v_add_f32_e32 v21, v54, v21
	v_fmac_f32_e32 v57, 0x3f0a6770, v58
	v_add_f32_e32 v54, v107, v63
	v_sub_f32_e32 v58, v63, v107
	v_mul_f32_e32 v63, 0xbf7d64f0, v61
	v_add_f32_e32 v20, v57, v20
	v_add_f32_e32 v57, v108, v64
	v_mov_b32_e32 v64, v63
	v_fmac_f32_e32 v64, 0xbe11bafb, v54
	v_add_f32_e32 v60, v64, v60
	v_mul_f32_e32 v64, 0xbe11bafb, v57
	v_fma_f32 v63, v54, s6, -v63
	v_mov_b32_e32 v107, v64
	v_add_f32_e32 v59, v63, v59
	v_fmac_f32_e32 v64, 0xbf7d64f0, v58
	v_mul_f32_e32 v63, 0x3e903f40, v61
	v_add_f32_e32 v62, v64, v62
	v_mov_b32_e32 v64, v63
	v_fmac_f32_e32 v64, 0xbf75a155, v54
	v_fmac_f32_e32 v107, 0x3f7d64f0, v58
	v_add_f32_e32 v64, v64, v70
	v_mul_f32_e32 v70, 0xbf75a155, v57
	v_add_f32_e32 v71, v107, v71
	v_mov_b32_e32 v107, v70
	v_fma_f32 v63, v54, s12, -v63
	v_fmac_f32_e32 v70, 0x3e903f40, v58
	v_add_f32_e32 v63, v63, v69
	v_add_f32_e32 v69, v70, v109
	v_mul_f32_e32 v70, 0x3f68dda4, v61
	v_mov_b32_e32 v108, v70
	v_fma_f32 v70, v54, s5, -v70
	v_fmac_f32_e32 v107, 0xbe903f40, v58
	v_fmac_f32_e32 v108, 0x3ed4b147, v54
	v_mul_f32_e32 v109, 0x3ed4b147, v57
	v_add_f32_e32 v70, v70, v111
	v_mul_f32_e32 v111, 0xbf0a6770, v61
	v_add_f32_e32 v107, v107, v110
	v_add_f32_e32 v108, v108, v112
	v_mov_b32_e32 v110, v109
	v_fmac_f32_e32 v109, 0x3f68dda4, v58
	v_mov_b32_e32 v112, v111
	v_fma_f32 v111, v54, s4, -v111
	v_mul_f32_e32 v61, 0xbf4178ce, v61
	v_fmac_f32_e32 v110, 0xbf68dda4, v58
	v_add_f32_e32 v109, v109, v113
	v_fmac_f32_e32 v112, 0x3f575c64, v54
	v_mul_f32_e32 v113, 0x3f575c64, v57
	v_add_f32_e32 v111, v111, v115
	v_mov_b32_e32 v115, v61
	v_mul_f32_e32 v57, 0xbf27a4f4, v57
	v_add_f32_e32 v110, v110, v114
	v_add_f32_e32 v112, v112, v116
	v_mov_b32_e32 v114, v113
	v_fmac_f32_e32 v115, 0xbf27a4f4, v54
	v_mov_b32_e32 v116, v57
	v_fma_f32 v54, v54, s7, -v61
	v_sub_f32_e32 v61, v66, v106
	v_fmac_f32_e32 v114, 0x3f0a6770, v58
	v_fmac_f32_e32 v113, 0xbf0a6770, v58
	;; [unrolled: 1-line block ×3, first 2 shown]
	v_add_f32_e32 v21, v54, v21
	v_fmac_f32_e32 v57, 0xbf4178ce, v58
	v_add_f32_e32 v54, v105, v65
	v_sub_f32_e32 v58, v65, v105
	v_mul_f32_e32 v65, 0xbf4178ce, v61
	v_add_f32_e32 v20, v57, v20
	v_add_f32_e32 v57, v106, v66
	v_mov_b32_e32 v66, v65
	v_fmac_f32_e32 v66, 0xbf27a4f4, v54
	v_add_f32_e32 v60, v66, v60
	v_mul_f32_e32 v66, 0xbf27a4f4, v57
	v_fma_f32 v65, v54, s7, -v65
	v_mov_b32_e32 v105, v66
	v_add_f32_e32 v59, v65, v59
	v_fmac_f32_e32 v66, 0xbf4178ce, v58
	v_mul_f32_e32 v65, 0x3f7d64f0, v61
	v_add_f32_e32 v62, v66, v62
	v_mov_b32_e32 v66, v65
	v_fmac_f32_e32 v66, 0xbe11bafb, v54
	v_fmac_f32_e32 v105, 0x3f4178ce, v58
	v_add_f32_e32 v64, v66, v64
	v_mul_f32_e32 v66, 0xbe11bafb, v57
	v_add_f32_e32 v71, v105, v71
	v_mov_b32_e32 v105, v66
	v_fma_f32 v65, v54, s6, -v65
	v_fmac_f32_e32 v66, 0x3f7d64f0, v58
	v_fmac_f32_e32 v105, 0xbf7d64f0, v58
	v_add_f32_e32 v63, v65, v63
	v_add_f32_e32 v65, v66, v69
	v_mul_f32_e32 v66, 0xbf0a6770, v61
	v_mul_f32_e32 v106, 0x3f575c64, v57
	v_add_f32_e32 v105, v105, v107
	v_mov_b32_e32 v69, v66
	v_mov_b32_e32 v107, v106
	v_fma_f32 v66, v54, s4, -v66
	v_fmac_f32_e32 v106, 0xbf0a6770, v58
	v_fmac_f32_e32 v69, 0x3f575c64, v54
	v_add_f32_e32 v66, v66, v70
	v_add_f32_e32 v70, v106, v109
	v_mul_f32_e32 v106, 0xbe903f40, v61
	v_add_f32_e32 v69, v69, v108
	v_mov_b32_e32 v108, v106
	v_fmac_f32_e32 v107, 0x3f0a6770, v58
	v_fmac_f32_e32 v108, 0xbf75a155, v54
	v_mul_f32_e32 v109, 0xbf75a155, v57
	v_mul_f32_e32 v57, 0x3ed4b147, v57
	v_add_f32_e32 v118, v118, v122
	v_add_f32_e32 v120, v120, v124
	v_add_f32_e32 v107, v107, v110
	v_add_f32_e32 v108, v108, v112
	v_mov_b32_e32 v110, v109
	v_mov_b32_e32 v112, v57
	v_add_f32_e32 v117, v117, v121
	v_add_f32_e32 v114, v114, v118
	;; [unrolled: 1-line block ×3, first 2 shown]
	v_fmac_f32_e32 v110, 0x3e903f40, v58
	v_fma_f32 v106, v54, s12, -v106
	v_mul_f32_e32 v61, 0x3f68dda4, v61
	v_fmac_f32_e32 v112, 0xbf68dda4, v58
	v_add_f32_e32 v113, v113, v117
	v_add_f32_e32 v110, v110, v114
	;; [unrolled: 1-line block ×3, first 2 shown]
	v_fmac_f32_e32 v109, 0xbe903f40, v58
	v_mov_b32_e32 v111, v61
	v_add_f32_e32 v112, v112, v116
	v_fmac_f32_e32 v57, 0x3f68dda4, v58
	v_add_f32_e32 v114, v103, v67
	v_sub_f32_e32 v116, v67, v103
	v_sub_f32_e32 v103, v68, v104
	v_add_f32_e32 v119, v119, v123
	v_add_f32_e32 v109, v109, v113
	v_fmac_f32_e32 v111, 0x3ed4b147, v54
	v_fma_f32 v54, v54, s5, -v61
	v_add_f32_e32 v113, v57, v20
	v_mul_f32_e32 v20, 0xbe903f40, v103
	v_add_f32_e32 v115, v115, v119
	v_add_f32_e32 v54, v54, v21
	v_mov_b32_e32 v21, v20
	v_add_f32_e32 v111, v111, v115
	v_add_f32_e32 v115, v104, v68
	v_fmac_f32_e32 v21, 0xbf75a155, v114
	v_add_f32_e32 v57, v21, v60
	v_mul_f32_e32 v21, 0xbf75a155, v115
	v_mov_b32_e32 v58, v21
	v_fmac_f32_e32 v21, 0xbe903f40, v116
	v_add_f32_e32 v21, v21, v62
	v_mul_f32_e32 v62, 0x3f575c64, v115
	v_fma_f32 v20, v114, s12, -v20
	v_mul_f32_e32 v61, 0x3f0a6770, v103
	v_mov_b32_e32 v60, v62
	v_fmac_f32_e32 v62, 0x3f0a6770, v116
	v_add_f32_e32 v20, v20, v59
	v_mov_b32_e32 v59, v61
	v_fma_f32 v61, v114, s4, -v61
	v_add_f32_e32 v62, v62, v65
	v_mul_f32_e32 v65, 0xbf4178ce, v103
	v_add_f32_e32 v61, v61, v63
	v_mov_b32_e32 v63, v65
	v_fmac_f32_e32 v59, 0x3f575c64, v114
	v_fmac_f32_e32 v63, 0xbf27a4f4, v114
	v_mul_f32_e32 v67, 0xbf27a4f4, v115
	v_add_f32_e32 v59, v59, v64
	v_add_f32_e32 v63, v63, v69
	v_mov_b32_e32 v64, v67
	v_fma_f32 v65, v114, s7, -v65
	v_fmac_f32_e32 v67, 0xbf4178ce, v116
	v_mul_f32_e32 v69, 0x3f68dda4, v103
	v_fmac_f32_e32 v58, 0x3e903f40, v116
	v_add_f32_e32 v65, v65, v66
	v_add_f32_e32 v66, v67, v70
	v_mov_b32_e32 v67, v69
	v_mul_f32_e32 v70, 0x3ed4b147, v115
	v_fma_f32 v69, v114, s5, -v69
	v_add_f32_e32 v58, v58, v71
	v_mov_b32_e32 v68, v70
	v_add_f32_e32 v69, v69, v106
	v_mul_f32_e32 v71, 0xbf7d64f0, v103
	v_mul_f32_e32 v106, 0xbe11bafb, v115
	v_fmac_f32_e32 v60, 0xbf0a6770, v116
	v_fmac_f32_e32 v64, 0x3f4178ce, v116
	;; [unrolled: 1-line block ×5, first 2 shown]
	v_mov_b32_e32 v103, v71
	v_mov_b32_e32 v104, v106
	v_add_f32_e32 v60, v60, v105
	v_add_f32_e32 v64, v64, v107
	;; [unrolled: 1-line block ×5, first 2 shown]
	v_fmac_f32_e32 v103, 0xbe11bafb, v114
	v_fmac_f32_e32 v104, 0x3f7d64f0, v116
	v_fma_f32 v71, v114, s6, -v71
	v_fmac_f32_e32 v106, 0xbf7d64f0, v116
	v_add_f32_e32 v103, v103, v111
	v_add_f32_e32 v104, v104, v112
	;; [unrolled: 1-line block ×4, first 2 shown]
	s_waitcnt lgkmcnt(0)
	; wave barrier
	ds_write2_b64 v55, v[52:53], v[57:58] offset1:1
	ds_write2_b64 v55, v[59:60], v[63:64] offset0:2 offset1:3
	ds_write2_b64 v55, v[67:68], v[103:104] offset0:4 offset1:5
	;; [unrolled: 1-line block ×4, first 2 shown]
	ds_write_b64 v55, v[20:21] offset:80
	s_waitcnt lgkmcnt(0)
	; wave barrier
	s_waitcnt lgkmcnt(0)
	ds_read2_b64 v[52:55], v97 offset1:55
	ds_read2_b64 v[68:71], v97 offset0:121 offset1:176
	ds_read2_b64 v[64:67], v56 offset0:114 offset1:169
	;; [unrolled: 1-line block ×3, first 2 shown]
	v_add_u32_e32 v56, 0xc00, v97
	ds_read2_b64 v[56:59], v56 offset0:100 offset1:155
	s_and_saveexec_b64 s[0:1], vcc
	s_cbranch_execz .LBB0_7
; %bb.6:
	ds_read2_b64 v[20:23], v97 offset0:110 offset1:231
	ds_read2_b64 v[36:39], v102 offset0:96 offset1:217
	ds_read_b64 v[95:96], v97 offset:4752
.LBB0_7:
	s_or_b64 exec, exec, s[0:1]
	s_waitcnt lgkmcnt(3)
	v_mul_f32_e32 v102, v13, v69
	v_mul_f32_e32 v13, v13, v68
	v_fmac_f32_e32 v102, v12, v68
	v_fma_f32 v68, v12, v69, -v13
	s_waitcnt lgkmcnt(2)
	v_mul_f32_e32 v69, v15, v65
	v_mul_f32_e32 v12, v15, v64
	s_waitcnt lgkmcnt(1)
	v_mul_f32_e32 v15, v9, v61
	v_mul_f32_e32 v9, v9, v60
	v_fmac_f32_e32 v69, v14, v64
	v_fmac_f32_e32 v15, v8, v60
	v_fma_f32 v60, v8, v61, -v9
	s_waitcnt lgkmcnt(0)
	v_mul_f32_e32 v13, v11, v57
	v_mul_f32_e32 v8, v11, v56
	v_fmac_f32_e32 v13, v10, v56
	v_fma_f32 v56, v10, v57, -v8
	v_mul_f32_e32 v8, v25, v70
	v_add_f32_e32 v9, v69, v15
	v_fma_f32 v64, v14, v65, -v12
	v_fma_f32 v61, v24, v71, -v8
	v_mul_f32_e32 v65, v27, v67
	v_mul_f32_e32 v8, v27, v66
	v_fma_f32 v10, -0.5, v9, v52
	v_fmac_f32_e32 v65, v26, v66
	v_fma_f32 v66, v26, v67, -v8
	v_mul_f32_e32 v67, v17, v63
	v_mul_f32_e32 v8, v17, v62
	v_sub_f32_e32 v9, v68, v56
	v_mov_b32_e32 v12, v10
	v_fmac_f32_e32 v67, v16, v62
	v_fma_f32 v62, v16, v63, -v8
	v_fmac_f32_e32 v12, 0xbf737871, v9
	v_sub_f32_e32 v11, v64, v60
	v_sub_f32_e32 v14, v102, v69
	;; [unrolled: 1-line block ×3, first 2 shown]
	v_fmac_f32_e32 v10, 0x3f737871, v9
	v_fmac_f32_e32 v12, 0xbf167918, v11
	v_add_f32_e32 v14, v14, v16
	v_fmac_f32_e32 v10, 0x3f167918, v11
	v_fmac_f32_e32 v12, 0x3e9e377a, v14
	;; [unrolled: 1-line block ×3, first 2 shown]
	v_add_f32_e32 v14, v102, v13
	v_mul_f32_e32 v27, v19, v59
	v_mul_f32_e32 v8, v19, v58
	v_fma_f32 v14, -0.5, v14, v52
	v_fmac_f32_e32 v27, v18, v58
	v_fma_f32 v58, v18, v59, -v8
	v_add_f32_e32 v8, v52, v102
	v_mov_b32_e32 v16, v14
	v_add_f32_e32 v8, v8, v69
	v_fmac_f32_e32 v16, 0x3f737871, v11
	v_fmac_f32_e32 v14, 0xbf737871, v11
	v_add_f32_e32 v11, v64, v60
	v_add_f32_e32 v8, v8, v15
	v_sub_f32_e32 v17, v69, v102
	v_sub_f32_e32 v18, v15, v13
	v_fma_f32 v11, -0.5, v11, v53
	v_add_f32_e32 v8, v8, v13
	v_fmac_f32_e32 v16, 0xbf167918, v9
	v_add_f32_e32 v17, v17, v18
	v_fmac_f32_e32 v14, 0x3f167918, v9
	v_sub_f32_e32 v18, v102, v13
	v_mov_b32_e32 v13, v11
	v_fmac_f32_e32 v16, 0x3e9e377a, v17
	v_fmac_f32_e32 v14, 0x3e9e377a, v17
	;; [unrolled: 1-line block ×3, first 2 shown]
	v_sub_f32_e32 v19, v69, v15
	v_sub_f32_e32 v15, v68, v64
	;; [unrolled: 1-line block ×3, first 2 shown]
	v_fmac_f32_e32 v11, 0xbf737871, v18
	v_fmac_f32_e32 v13, 0x3f167918, v19
	v_add_f32_e32 v15, v15, v17
	v_fmac_f32_e32 v11, 0xbf167918, v19
	v_fmac_f32_e32 v13, 0x3e9e377a, v15
	;; [unrolled: 1-line block ×3, first 2 shown]
	v_add_f32_e32 v15, v68, v56
	v_fma_f32 v15, -0.5, v15, v53
	v_mul_f32_e32 v57, v25, v71
	v_mov_b32_e32 v17, v15
	v_fmac_f32_e32 v57, v24, v70
	v_fmac_f32_e32 v17, 0xbf737871, v19
	v_sub_f32_e32 v24, v64, v68
	v_sub_f32_e32 v25, v60, v56
	v_fmac_f32_e32 v15, 0x3f737871, v19
	v_fmac_f32_e32 v17, 0x3f167918, v18
	v_add_f32_e32 v24, v24, v25
	v_fmac_f32_e32 v15, 0xbf167918, v18
	v_add_f32_e32 v19, v65, v67
	v_fmac_f32_e32 v17, 0x3e9e377a, v24
	v_fmac_f32_e32 v15, 0x3e9e377a, v24
	v_fma_f32 v24, -0.5, v19, v54
	v_sub_f32_e32 v19, v61, v58
	v_mov_b32_e32 v26, v24
	v_add_f32_e32 v9, v53, v68
	v_fmac_f32_e32 v26, 0xbf737871, v19
	v_sub_f32_e32 v25, v66, v62
	v_sub_f32_e32 v52, v57, v65
	;; [unrolled: 1-line block ×3, first 2 shown]
	v_fmac_f32_e32 v24, 0x3f737871, v19
	v_fmac_f32_e32 v26, 0xbf167918, v25
	v_add_f32_e32 v52, v52, v53
	v_fmac_f32_e32 v24, 0x3f167918, v25
	v_fmac_f32_e32 v26, 0x3e9e377a, v52
	;; [unrolled: 1-line block ×3, first 2 shown]
	v_add_f32_e32 v52, v57, v27
	v_add_f32_e32 v18, v54, v57
	v_fma_f32 v54, -0.5, v52, v54
	v_add_f32_e32 v9, v9, v64
	v_mov_b32_e32 v52, v54
	v_add_f32_e32 v9, v9, v60
	v_add_f32_e32 v18, v18, v65
	v_fmac_f32_e32 v52, 0x3f737871, v25
	v_fmac_f32_e32 v54, 0xbf737871, v25
	v_add_f32_e32 v25, v66, v62
	v_add_f32_e32 v9, v9, v56
	v_add_f32_e32 v18, v18, v67
	v_sub_f32_e32 v53, v65, v57
	v_sub_f32_e32 v56, v67, v27
	v_fma_f32 v25, -0.5, v25, v55
	v_add_f32_e32 v18, v18, v27
	v_fmac_f32_e32 v52, 0xbf167918, v19
	v_add_f32_e32 v53, v53, v56
	v_fmac_f32_e32 v54, 0x3f167918, v19
	v_sub_f32_e32 v56, v57, v27
	v_mov_b32_e32 v27, v25
	v_fmac_f32_e32 v52, 0x3e9e377a, v53
	v_fmac_f32_e32 v54, 0x3e9e377a, v53
	;; [unrolled: 1-line block ×3, first 2 shown]
	v_sub_f32_e32 v57, v65, v67
	v_sub_f32_e32 v53, v61, v66
	;; [unrolled: 1-line block ×3, first 2 shown]
	v_fmac_f32_e32 v25, 0xbf737871, v56
	v_fmac_f32_e32 v27, 0x3f167918, v57
	v_add_f32_e32 v53, v53, v59
	v_fmac_f32_e32 v25, 0xbf167918, v57
	v_add_f32_e32 v19, v55, v61
	v_fmac_f32_e32 v27, 0x3e9e377a, v53
	v_fmac_f32_e32 v25, 0x3e9e377a, v53
	v_add_f32_e32 v53, v61, v58
	v_add_f32_e32 v19, v19, v66
	v_fmac_f32_e32 v55, -0.5, v53
	v_add_f32_e32 v19, v19, v62
	v_mov_b32_e32 v53, v55
	v_add_f32_e32 v19, v19, v58
	v_fmac_f32_e32 v53, 0xbf737871, v57
	v_sub_f32_e32 v59, v66, v61
	v_sub_f32_e32 v58, v62, v58
	v_fmac_f32_e32 v55, 0x3f737871, v57
	v_fmac_f32_e32 v53, 0x3f167918, v56
	v_add_f32_e32 v58, v59, v58
	v_fmac_f32_e32 v55, 0xbf167918, v56
	v_fmac_f32_e32 v53, 0x3e9e377a, v58
	;; [unrolled: 1-line block ×3, first 2 shown]
	s_waitcnt lgkmcnt(0)
	; wave barrier
	ds_write2_b64 v100, v[8:9], v[12:13] offset1:11
	ds_write2_b64 v100, v[16:17], v[14:15] offset0:22 offset1:33
	ds_write_b64 v100, v[10:11] offset:352
	ds_write2_b64 v101, v[18:19], v[26:27] offset1:11
	ds_write2_b64 v101, v[52:53], v[54:55] offset0:22 offset1:33
	ds_write_b64 v101, v[24:25] offset:352
	s_and_saveexec_b64 s[0:1], vcc
	s_cbranch_execz .LBB0_9
; %bb.8:
	v_mul_f32_e32 v8, v7, v36
	v_mul_f32_e32 v10, v1, v38
	v_fma_f32 v9, v6, v37, -v8
	v_mul_f32_e32 v8, v5, v22
	v_fma_f32 v12, v0, v39, -v10
	;; [unrolled: 2-line block ×3, first 2 shown]
	v_fma_f32 v13, v2, v96, -v10
	v_mul_f32_e32 v14, v7, v37
	v_mul_f32_e32 v15, v1, v39
	v_add_f32_e32 v1, v11, v13
	v_mul_f32_e32 v16, v5, v23
	v_fmac_f32_e32 v14, v6, v36
	v_fmac_f32_e32 v15, v0, v38
	v_fma_f32 v1, -0.5, v1, v21
	v_fmac_f32_e32 v16, v4, v22
	v_mul_f32_e32 v4, v3, v96
	v_sub_f32_e32 v0, v14, v15
	v_mov_b32_e32 v6, v1
	v_fmac_f32_e32 v4, v2, v95
	v_sub_f32_e32 v3, v11, v9
	v_sub_f32_e32 v5, v13, v12
	;; [unrolled: 1-line block ×4, first 2 shown]
	v_fmac_f32_e32 v6, 0x3f737871, v0
	v_sub_f32_e32 v2, v16, v4
	v_fmac_f32_e32 v1, 0xbf737871, v0
	v_add_f32_e32 v5, v3, v5
	v_add_f32_e32 v3, v9, v12
	;; [unrolled: 1-line block ×3, first 2 shown]
	v_fmac_f32_e32 v6, 0xbf167918, v2
	v_fmac_f32_e32 v1, 0x3f167918, v2
	v_fma_f32 v3, -0.5, v3, v21
	v_fmac_f32_e32 v6, 0x3e9e377a, v8
	v_fmac_f32_e32 v1, 0x3e9e377a, v8
	v_mov_b32_e32 v8, v3
	v_fmac_f32_e32 v8, 0xbf737871, v2
	v_fmac_f32_e32 v3, 0x3f737871, v2
	;; [unrolled: 1-line block ×4, first 2 shown]
	v_add_f32_e32 v0, v21, v11
	v_add_f32_e32 v0, v0, v9
	v_add_f32_e32 v0, v0, v12
	v_add_f32_e32 v10, v0, v13
	v_sub_f32_e32 v0, v14, v16
	v_sub_f32_e32 v2, v15, v4
	v_add_f32_e32 v2, v0, v2
	v_add_f32_e32 v0, v16, v4
	v_fma_f32 v0, -0.5, v0, v20
	v_fmac_f32_e32 v8, 0x3e9e377a, v5
	v_fmac_f32_e32 v3, 0x3e9e377a, v5
	v_sub_f32_e32 v9, v9, v12
	v_mov_b32_e32 v5, v0
	v_sub_f32_e32 v11, v11, v13
	v_fmac_f32_e32 v5, 0xbf737871, v9
	v_fmac_f32_e32 v0, 0x3f737871, v9
	;; [unrolled: 1-line block ×6, first 2 shown]
	v_sub_f32_e32 v2, v16, v14
	v_sub_f32_e32 v7, v4, v15
	v_add_f32_e32 v12, v2, v7
	v_add_f32_e32 v2, v14, v15
	v_fma_f32 v2, -0.5, v2, v20
	v_mov_b32_e32 v7, v2
	v_fmac_f32_e32 v7, 0x3f737871, v11
	v_fmac_f32_e32 v2, 0xbf737871, v11
	;; [unrolled: 1-line block ×4, first 2 shown]
	v_add_f32_e32 v9, v20, v16
	v_add_f32_e32 v9, v9, v14
	;; [unrolled: 1-line block ×4, first 2 shown]
	v_mov_b32_e32 v4, 3
	v_lshlrev_b32_sdwa v4, v4, v99 dst_sel:DWORD dst_unused:UNUSED_PAD src0_sel:DWORD src1_sel:BYTE_0
	v_fmac_f32_e32 v2, 0x3e9e377a, v12
	v_add_u32_e32 v11, 0x1000, v4
	v_fmac_f32_e32 v7, 0x3e9e377a, v12
	ds_write2_b64 v11, v[9:10], v[2:3] offset0:38 offset1:49
	ds_write2_b64 v11, v[0:1], v[5:6] offset0:60 offset1:71
	ds_write_b64 v4, v[7:8] offset:4752
.LBB0_9:
	s_or_b64 exec, exec, s[0:1]
	s_waitcnt lgkmcnt(0)
	; wave barrier
	s_waitcnt lgkmcnt(0)
	ds_read2_b64 v[2:5], v97 offset1:55
	ds_read2_b64 v[6:9], v97 offset0:110 offset1:165
	v_add_u32_e32 v1, 0x400, v97
	ds_read2_b64 v[10:13], v1 offset0:92 offset1:147
	v_add_u32_e32 v0, 0x800, v97
	s_waitcnt lgkmcnt(2)
	v_mul_f32_e32 v26, v45, v5
	v_fmac_f32_e32 v26, v44, v4
	v_mul_f32_e32 v4, v45, v4
	v_fma_f32 v27, v44, v5, -v4
	s_waitcnt lgkmcnt(1)
	v_mul_f32_e32 v36, v47, v7
	v_mul_f32_e32 v4, v47, v6
	ds_read2_b64 v[14:17], v0 offset0:74 offset1:129
	ds_read2_b64 v[18:21], v0 offset0:184 offset1:239
	ds_read_b64 v[24:25], v97 offset:4400
	v_fmac_f32_e32 v36, v46, v6
	v_fma_f32 v6, v46, v7, -v4
	v_mul_f32_e32 v7, v41, v9
	v_mul_f32_e32 v4, v41, v8
	v_fmac_f32_e32 v7, v40, v8
	v_fma_f32 v8, v40, v9, -v4
	s_waitcnt lgkmcnt(3)
	v_mul_f32_e32 v9, v43, v11
	v_mul_f32_e32 v4, v43, v10
	v_fmac_f32_e32 v9, v42, v10
	v_fma_f32 v10, v42, v11, -v4
	v_mul_f32_e32 v11, v33, v13
	v_mul_f32_e32 v4, v33, v12
	v_fmac_f32_e32 v11, v32, v12
	v_fma_f32 v12, v32, v13, -v4
	s_waitcnt lgkmcnt(2)
	v_mul_f32_e32 v13, v35, v15
	v_mul_f32_e32 v4, v35, v14
	;; [unrolled: 9-line block ×4, first 2 shown]
	v_add_f32_e32 v5, v3, v27
	v_fmac_f32_e32 v21, v50, v24
	v_fma_f32 v24, v50, v25, -v4
	v_add_f32_e32 v4, v2, v26
	v_add_f32_e32 v5, v5, v6
	;; [unrolled: 1-line block ×19, first 2 shown]
	v_sub_f32_e32 v24, v27, v24
	v_mad_u64_u32 v[22:23], s[0:1], s10, v80, 0
	v_add_f32_e32 v4, v4, v21
	v_add_f32_e32 v25, v26, v21
	v_sub_f32_e32 v21, v26, v21
	v_mul_f32_e32 v26, 0xbf0a6770, v24
	v_mul_f32_e32 v31, 0xbf68dda4, v24
	;; [unrolled: 1-line block ×5, first 2 shown]
	s_mov_b32 s1, 0x3ed4b147
	s_mov_b32 s0, 0xbe11bafb
	;; [unrolled: 1-line block ×4, first 2 shown]
	v_mov_b32_e32 v44, v24
	v_fma_f32 v27, v25, s4, -v26
	v_fmac_f32_e32 v26, 0x3f575c64, v25
	v_mul_f32_e32 v29, 0x3f575c64, v28
	v_fma_f32 v32, v25, s1, -v31
	v_fmac_f32_e32 v31, 0x3ed4b147, v25
	v_mul_f32_e32 v33, 0x3ed4b147, v28
	;; [unrolled: 3-line block ×4, first 2 shown]
	v_fmac_f32_e32 v44, 0xbf75a155, v25
	v_mul_f32_e32 v28, 0xbf75a155, v28
	v_fma_f32 v24, v25, s6, -v24
	v_add_f32_e32 v26, v2, v26
	v_mov_b32_e32 v30, v29
	v_add_f32_e32 v27, v2, v27
	v_add_f32_e32 v31, v2, v31
	v_mov_b32_e32 v34, v33
	v_add_f32_e32 v32, v2, v32
	;; [unrolled: 3-line block ×5, first 2 shown]
	v_add_f32_e32 v24, v6, v20
	v_sub_f32_e32 v6, v6, v20
	v_fmac_f32_e32 v30, 0x3f0a6770, v21
	v_fmac_f32_e32 v29, 0xbf0a6770, v21
	;; [unrolled: 1-line block ×10, first 2 shown]
	v_add_f32_e32 v21, v36, v19
	v_mul_f32_e32 v20, 0xbf68dda4, v6
	v_fma_f32 v25, v21, s1, -v20
	v_fmac_f32_e32 v20, 0x3ed4b147, v21
	v_add_f32_e32 v20, v20, v26
	v_mul_f32_e32 v26, 0x3ed4b147, v24
	v_add_f32_e32 v30, v3, v30
	v_add_f32_e32 v29, v3, v29
	v_add_f32_e32 v34, v3, v34
	v_add_f32_e32 v33, v3, v33
	v_add_f32_e32 v39, v3, v39
	v_add_f32_e32 v38, v3, v38
	v_add_f32_e32 v43, v3, v43
	v_add_f32_e32 v42, v3, v42
	v_add_f32_e32 v45, v3, v45
	v_add_f32_e32 v3, v3, v28
	v_sub_f32_e32 v19, v36, v19
	v_mov_b32_e32 v28, v26
	v_fmac_f32_e32 v28, 0x3f68dda4, v19
	v_add_f32_e32 v25, v25, v27
	v_fmac_f32_e32 v26, 0xbf68dda4, v19
	v_mul_f32_e32 v27, 0xbf4178ce, v6
	v_add_f32_e32 v28, v28, v30
	v_add_f32_e32 v26, v26, v29
	v_fma_f32 v29, v21, s5, -v27
	v_fmac_f32_e32 v27, 0xbf27a4f4, v21
	v_mul_f32_e32 v30, 0xbf27a4f4, v24
	v_add_f32_e32 v27, v27, v31
	v_mov_b32_e32 v31, v30
	v_fmac_f32_e32 v31, 0x3f4178ce, v19
	v_add_f32_e32 v29, v29, v32
	v_fmac_f32_e32 v30, 0xbf4178ce, v19
	v_mul_f32_e32 v32, 0x3e903f40, v6
	v_add_f32_e32 v31, v31, v34
	v_add_f32_e32 v30, v30, v33
	v_fma_f32 v33, v21, s6, -v32
	v_fmac_f32_e32 v32, 0xbf75a155, v21
	v_mul_f32_e32 v34, 0xbf75a155, v24
	v_add_f32_e32 v32, v32, v35
	v_mov_b32_e32 v35, v34
	v_fmac_f32_e32 v34, 0x3e903f40, v19
	v_mul_f32_e32 v36, 0x3f7d64f0, v6
	v_fmac_f32_e32 v35, 0xbe903f40, v19
	v_add_f32_e32 v33, v33, v37
	v_add_f32_e32 v34, v34, v38
	v_fma_f32 v37, v21, s0, -v36
	v_mul_f32_e32 v38, 0xbe11bafb, v24
	v_mul_f32_e32 v24, 0x3f575c64, v24
	v_add_f32_e32 v35, v35, v39
	v_fmac_f32_e32 v36, 0xbe11bafb, v21
	v_mov_b32_e32 v39, v38
	v_add_f32_e32 v37, v37, v41
	v_mul_f32_e32 v6, 0x3f0a6770, v6
	v_mov_b32_e32 v41, v24
	v_add_f32_e32 v36, v36, v40
	v_fmac_f32_e32 v39, 0xbf7d64f0, v19
	v_fmac_f32_e32 v38, 0x3f7d64f0, v19
	v_mov_b32_e32 v40, v6
	v_fmac_f32_e32 v41, 0xbf0a6770, v19
	v_fma_f32 v6, v21, s4, -v6
	v_fmac_f32_e32 v24, 0x3f0a6770, v19
	v_add_f32_e32 v19, v8, v18
	v_sub_f32_e32 v8, v8, v18
	v_add_f32_e32 v2, v6, v2
	v_add_f32_e32 v6, v7, v17
	v_sub_f32_e32 v7, v7, v17
	v_mul_f32_e32 v17, 0xbf7d64f0, v8
	v_fma_f32 v18, v6, s0, -v17
	v_fmac_f32_e32 v17, 0xbe11bafb, v6
	v_add_f32_e32 v17, v17, v20
	v_mul_f32_e32 v20, 0xbe11bafb, v19
	v_fmac_f32_e32 v40, 0x3f575c64, v21
	v_mov_b32_e32 v21, v20
	v_add_f32_e32 v3, v24, v3
	v_fmac_f32_e32 v21, 0x3f7d64f0, v7
	v_mul_f32_e32 v24, 0x3e903f40, v8
	v_add_f32_e32 v21, v21, v28
	v_add_f32_e32 v18, v18, v25
	v_fmac_f32_e32 v20, 0xbf7d64f0, v7
	v_fma_f32 v25, v6, s6, -v24
	v_mul_f32_e32 v28, 0x3f68dda4, v8
	v_add_f32_e32 v20, v20, v26
	v_fmac_f32_e32 v24, 0xbf75a155, v6
	v_mul_f32_e32 v26, 0xbf75a155, v19
	v_add_f32_e32 v25, v25, v29
	v_fma_f32 v29, v6, s1, -v28
	v_fmac_f32_e32 v28, 0x3ed4b147, v6
	v_add_f32_e32 v24, v24, v27
	v_mov_b32_e32 v27, v26
	v_fmac_f32_e32 v26, 0x3e903f40, v7
	v_add_f32_e32 v28, v28, v32
	v_mul_f32_e32 v32, 0xbf0a6770, v8
	v_fmac_f32_e32 v27, 0xbe903f40, v7
	v_add_f32_e32 v26, v26, v30
	v_mul_f32_e32 v30, 0x3ed4b147, v19
	v_add_f32_e32 v29, v29, v33
	v_fma_f32 v33, v6, s4, -v32
	v_fmac_f32_e32 v32, 0x3f575c64, v6
	v_mul_f32_e32 v8, 0xbf4178ce, v8
	v_add_f32_e32 v27, v27, v31
	v_mov_b32_e32 v31, v30
	v_fmac_f32_e32 v30, 0x3f68dda4, v7
	v_add_f32_e32 v32, v32, v36
	v_mov_b32_e32 v36, v8
	v_fmac_f32_e32 v31, 0xbf68dda4, v7
	v_add_f32_e32 v30, v30, v34
	v_mul_f32_e32 v34, 0x3f575c64, v19
	v_fmac_f32_e32 v36, 0xbf27a4f4, v6
	v_mul_f32_e32 v19, 0xbf27a4f4, v19
	v_fma_f32 v6, v6, s5, -v8
	v_add_f32_e32 v31, v31, v35
	v_mov_b32_e32 v35, v34
	v_add_f32_e32 v33, v33, v37
	v_mov_b32_e32 v37, v19
	v_add_f32_e32 v2, v6, v2
	v_add_f32_e32 v6, v9, v15
	v_sub_f32_e32 v8, v9, v15
	v_sub_f32_e32 v9, v10, v16
	v_fmac_f32_e32 v35, 0x3f0a6770, v7
	v_fmac_f32_e32 v34, 0xbf0a6770, v7
	v_fmac_f32_e32 v37, 0x3f4178ce, v7
	v_fmac_f32_e32 v19, 0xbf4178ce, v7
	v_add_f32_e32 v7, v10, v16
	v_mul_f32_e32 v10, 0xbf4178ce, v9
	v_fma_f32 v15, v6, s5, -v10
	v_fmac_f32_e32 v10, 0xbf27a4f4, v6
	v_mul_f32_e32 v16, 0xbf27a4f4, v7
	v_add_f32_e32 v10, v10, v17
	v_mov_b32_e32 v17, v16
	v_add_f32_e32 v15, v15, v18
	v_fmac_f32_e32 v16, 0xbf4178ce, v8
	v_mul_f32_e32 v18, 0x3f7d64f0, v9
	v_add_f32_e32 v3, v19, v3
	v_fmac_f32_e32 v17, 0x3f4178ce, v8
	v_add_f32_e32 v16, v16, v20
	v_fma_f32 v19, v6, s0, -v18
	v_fmac_f32_e32 v18, 0xbe11bafb, v6
	v_mul_f32_e32 v20, 0xbe11bafb, v7
	v_add_f32_e32 v17, v17, v21
	v_add_f32_e32 v18, v18, v24
	v_mov_b32_e32 v21, v20
	v_fmac_f32_e32 v20, 0x3f7d64f0, v8
	v_mul_f32_e32 v24, 0xbf0a6770, v9
	v_fmac_f32_e32 v21, 0xbf7d64f0, v8
	v_add_f32_e32 v19, v19, v25
	v_add_f32_e32 v20, v20, v26
	v_fma_f32 v25, v6, s4, -v24
	v_fmac_f32_e32 v24, 0x3f575c64, v6
	v_mul_f32_e32 v26, 0x3f575c64, v7
	v_add_f32_e32 v21, v21, v27
	v_add_f32_e32 v24, v24, v28
	v_mov_b32_e32 v27, v26
	v_fmac_f32_e32 v26, 0xbf0a6770, v8
	v_mul_f32_e32 v28, 0xbe903f40, v9
	v_add_f32_e32 v25, v25, v29
	v_add_f32_e32 v26, v26, v30
	v_fma_f32 v29, v6, s6, -v28
	v_fmac_f32_e32 v28, 0xbf75a155, v6
	v_mul_f32_e32 v30, 0xbf75a155, v7
	v_mul_f32_e32 v9, 0x3f68dda4, v9
	;; [unrolled: 1-line block ×3, first 2 shown]
	v_add_f32_e32 v39, v39, v43
	v_add_f32_e32 v38, v38, v42
	;; [unrolled: 1-line block ×4, first 2 shown]
	v_fmac_f32_e32 v27, 0x3f0a6770, v8
	v_add_f32_e32 v28, v28, v32
	v_add_f32_e32 v29, v29, v33
	v_mov_b32_e32 v32, v9
	v_mov_b32_e32 v33, v7
	v_add_f32_e32 v35, v35, v39
	v_add_f32_e32 v34, v34, v38
	;; [unrolled: 1-line block ×5, first 2 shown]
	v_mov_b32_e32 v31, v30
	v_fmac_f32_e32 v30, 0xbe903f40, v8
	v_fmac_f32_e32 v32, 0x3ed4b147, v6
	;; [unrolled: 1-line block ×3, first 2 shown]
	v_fma_f32 v6, v6, s1, -v9
	v_sub_f32_e32 v39, v12, v14
	v_fmac_f32_e32 v31, 0x3e903f40, v8
	v_add_f32_e32 v30, v30, v34
	v_add_f32_e32 v32, v32, v36
	;; [unrolled: 1-line block ×4, first 2 shown]
	v_fmac_f32_e32 v7, 0x3f68dda4, v8
	v_add_f32_e32 v36, v11, v13
	v_add_f32_e32 v37, v12, v14
	v_mul_f32_e32 v2, 0xbe903f40, v39
	v_add_f32_e32 v31, v31, v35
	v_add_f32_e32 v35, v7, v3
	v_sub_f32_e32 v38, v11, v13
	v_fma_f32 v6, v36, s6, -v2
	v_fmac_f32_e32 v2, 0xbf75a155, v36
	v_mul_f32_e32 v7, 0xbf75a155, v37
	v_mul_f32_e32 v8, 0x3f0a6770, v39
	;; [unrolled: 1-line block ×4, first 2 shown]
	v_add_f32_e32 v2, v2, v10
	v_mov_b32_e32 v3, v7
	v_fma_f32 v10, v36, s4, -v8
	v_mov_b32_e32 v9, v11
	v_fma_f32 v14, v36, s5, -v12
	v_fmac_f32_e32 v12, 0xbf27a4f4, v36
	v_fmac_f32_e32 v3, 0x3e903f40, v38
	v_add_f32_e32 v6, v6, v15
	v_fmac_f32_e32 v7, 0xbe903f40, v38
	v_fmac_f32_e32 v9, 0xbf0a6770, v38
	v_add_f32_e32 v10, v10, v19
	v_fmac_f32_e32 v11, 0x3f0a6770, v38
	v_add_f32_e32 v12, v12, v24
	v_mul_f32_e32 v15, 0xbf27a4f4, v37
	v_add_f32_e32 v14, v14, v25
	v_mul_f32_e32 v19, 0x3ed4b147, v37
	v_mul_f32_e32 v24, 0xbf7d64f0, v39
	;; [unrolled: 1-line block ×3, first 2 shown]
	v_add_f32_e32 v3, v3, v17
	v_add_f32_e32 v7, v7, v16
	v_fmac_f32_e32 v8, 0x3f575c64, v36
	v_add_f32_e32 v9, v9, v21
	v_add_f32_e32 v11, v11, v20
	v_mov_b32_e32 v13, v15
	v_mul_f32_e32 v16, 0x3f68dda4, v39
	v_mov_b32_e32 v17, v19
	v_mov_b32_e32 v20, v24
	;; [unrolled: 1-line block ×3, first 2 shown]
	v_add_f32_e32 v8, v8, v18
	v_fmac_f32_e32 v13, 0x3f4178ce, v38
	v_fmac_f32_e32 v15, 0xbf4178ce, v38
	v_fma_f32 v18, v36, s1, -v16
	v_fmac_f32_e32 v16, 0x3ed4b147, v36
	v_fmac_f32_e32 v17, 0xbf68dda4, v38
	;; [unrolled: 1-line block ×5, first 2 shown]
	v_fma_f32 v24, v36, s0, -v24
	v_fmac_f32_e32 v25, 0xbf7d64f0, v38
	v_add_f32_e32 v13, v13, v27
	v_add_f32_e32 v15, v15, v26
	;; [unrolled: 1-line block ×10, first 2 shown]
	ds_write2_b64 v97, v[4:5], v[2:3] offset1:55
	ds_write2_b64 v97, v[8:9], v[12:13] offset0:110 offset1:165
	ds_write2_b64 v1, v[16:17], v[20:21] offset0:92 offset1:147
	;; [unrolled: 1-line block ×4, first 2 shown]
	ds_write_b64 v97, v[6:7] offset:4400
	s_waitcnt lgkmcnt(0)
	; wave barrier
	s_waitcnt lgkmcnt(0)
	ds_read2_b64 v[2:5], v97 offset1:55
	s_mov_b32 s0, 0xdfd760e6
	s_mov_b32 s1, 0x3f5b14bb
	v_mad_u64_u32 v[9:10], s[4:5], s8, v98, 0
	s_waitcnt lgkmcnt(0)
	v_mul_f32_e32 v7, v94, v3
	v_fmac_f32_e32 v7, v93, v2
	v_cvt_f64_f32_e32 v[7:8], v7
	v_mul_f32_e32 v2, v94, v2
	v_fma_f32 v2, v93, v3, -v2
	v_cvt_f64_f32_e32 v[2:3], v2
	v_mul_f64 v[7:8], v[7:8], s[0:1]
	v_mov_b32_e32 v6, v23
	v_mul_f64 v[2:3], v[2:3], s[0:1]
	v_mad_u64_u32 v[11:12], s[4:5], s11, v80, v[6:7]
	v_mov_b32_e32 v6, v10
	v_mad_u64_u32 v[12:13], s[4:5], s9, v98, v[6:7]
	v_mov_b32_e32 v23, v11
	v_mul_f32_e32 v11, v92, v5
	v_fmac_f32_e32 v11, v91, v4
	v_mov_b32_e32 v10, v12
	v_cvt_f64_f32_e32 v[11:12], v11
	v_cvt_f32_f64_e32 v6, v[7:8]
	v_cvt_f32_f64_e32 v7, v[2:3]
	v_lshlrev_b64 v[2:3], 3, v[22:23]
	v_mul_f32_e32 v4, v92, v4
	v_fma_f32 v4, v91, v5, -v4
	v_mov_b32_e32 v8, s3
	v_cvt_f64_f32_e32 v[4:5], v4
	v_add_co_u32_e32 v13, vcc, s2, v2
	v_addc_co_u32_e32 v14, vcc, v8, v3, vcc
	v_lshlrev_b64 v[2:3], 3, v[9:10]
	v_mul_f64 v[8:9], v[11:12], s[0:1]
	v_add_co_u32_e32 v12, vcc, v13, v2
	v_mul_f64 v[10:11], v[4:5], s[0:1]
	v_addc_co_u32_e32 v13, vcc, v14, v3, vcc
	ds_read2_b64 v[2:5], v97 offset0:110 offset1:165
	global_store_dwordx2 v[12:13], v[6:7], off
	v_cvt_f32_f64_e32 v6, v[8:9]
	s_mul_i32 s2, s9, 0x1b8
	s_mul_hi_u32 s3, s8, 0x1b8
	s_waitcnt lgkmcnt(0)
	v_mul_f32_e32 v8, v88, v3
	v_fmac_f32_e32 v8, v87, v2
	v_mul_f32_e32 v2, v88, v2
	v_fma_f32 v2, v87, v3, -v2
	v_cvt_f64_f32_e32 v[2:3], v2
	v_cvt_f64_f32_e32 v[8:9], v8
	v_cvt_f32_f64_e32 v7, v[10:11]
	s_add_i32 s2, s3, s2
	v_mul_f64 v[2:3], v[2:3], s[0:1]
	v_mul_f64 v[8:9], v[8:9], s[0:1]
	s_mul_i32 s3, s8, 0x1b8
	v_mov_b32_e32 v11, s2
	v_add_co_u32_e32 v10, vcc, s3, v12
	v_addc_co_u32_e32 v11, vcc, v13, v11, vcc
	global_store_dwordx2 v[10:11], v[6:7], off
	v_cvt_f32_f64_e32 v7, v[2:3]
	v_mul_f32_e32 v2, v84, v5
	v_fmac_f32_e32 v2, v83, v4
	v_cvt_f32_f64_e32 v6, v[8:9]
	v_cvt_f64_f32_e32 v[8:9], v2
	v_mul_f32_e32 v2, v84, v4
	v_fma_f32 v2, v83, v5, -v2
	v_cvt_f64_f32_e32 v[12:13], v2
	ds_read2_b64 v[1:4], v1 offset0:92 offset1:147
	v_mov_b32_e32 v14, s2
	v_add_co_u32_e32 v10, vcc, s3, v10
	v_addc_co_u32_e32 v11, vcc, v11, v14, vcc
	global_store_dwordx2 v[10:11], v[6:7], off
	v_mul_f64 v[5:6], v[8:9], s[0:1]
	s_waitcnt lgkmcnt(0)
	v_mul_f32_e32 v9, v90, v2
	v_mul_f64 v[7:8], v[12:13], s[0:1]
	v_fmac_f32_e32 v9, v89, v1
	v_mul_f32_e32 v1, v90, v1
	v_fma_f32 v1, v89, v2, -v1
	v_cvt_f64_f32_e32 v[1:2], v1
	v_cvt_f64_f32_e32 v[12:13], v9
	v_cvt_f32_f64_e32 v5, v[5:6]
	v_add_co_u32_e32 v9, vcc, s3, v10
	v_mul_f64 v[1:2], v[1:2], s[0:1]
	v_cvt_f32_f64_e32 v6, v[7:8]
	v_mul_f64 v[7:8], v[12:13], s[0:1]
	v_mov_b32_e32 v12, s2
	v_addc_co_u32_e32 v10, vcc, v11, v12, vcc
	global_store_dwordx2 v[9:10], v[5:6], off
	v_mov_b32_e32 v13, s2
	v_cvt_f32_f64_e32 v6, v[1:2]
	v_mul_f32_e32 v1, v86, v4
	v_fmac_f32_e32 v1, v85, v3
	v_cvt_f32_f64_e32 v5, v[7:8]
	v_cvt_f64_f32_e32 v[7:8], v1
	v_mul_f32_e32 v1, v86, v3
	v_fma_f32 v1, v85, v4, -v1
	v_cvt_f64_f32_e32 v[11:12], v1
	ds_read2_b64 v[1:4], v0 offset0:74 offset1:129
	v_add_co_u32_e32 v9, vcc, s3, v9
	v_addc_co_u32_e32 v10, vcc, v10, v13, vcc
	global_store_dwordx2 v[9:10], v[5:6], off
	v_mul_f64 v[5:6], v[7:8], s[0:1]
	v_mul_f64 v[7:8], v[11:12], s[0:1]
	s_waitcnt lgkmcnt(0)
	v_mul_f32_e32 v11, v82, v2
	v_fmac_f32_e32 v11, v81, v1
	v_mul_f32_e32 v1, v82, v1
	v_fma_f32 v1, v81, v2, -v1
	v_cvt_f64_f32_e32 v[1:2], v1
	v_cvt_f64_f32_e32 v[11:12], v11
	v_cvt_f32_f64_e32 v5, v[5:6]
	v_cvt_f32_f64_e32 v6, v[7:8]
	v_mul_f64 v[1:2], v[1:2], s[0:1]
	v_mul_f64 v[7:8], v[11:12], s[0:1]
	v_mov_b32_e32 v11, s2
	v_add_co_u32_e32 v9, vcc, s3, v9
	v_addc_co_u32_e32 v10, vcc, v10, v11, vcc
	global_store_dwordx2 v[9:10], v[5:6], off
	v_cvt_f32_f64_e32 v6, v[1:2]
	v_mul_f32_e32 v1, v77, v4
	v_fmac_f32_e32 v1, v76, v3
	v_cvt_f32_f64_e32 v5, v[7:8]
	v_cvt_f64_f32_e32 v[7:8], v1
	v_mul_f32_e32 v1, v77, v3
	v_fma_f32 v1, v76, v4, -v1
	v_cvt_f64_f32_e32 v[11:12], v1
	ds_read2_b64 v[0:3], v0 offset0:184 offset1:239
	v_add_co_u32_e32 v9, vcc, s3, v9
	v_addc_co_u32_e32 v10, vcc, v10, v13, vcc
	global_store_dwordx2 v[9:10], v[5:6], off
	v_mul_f64 v[4:5], v[7:8], s[0:1]
	s_waitcnt lgkmcnt(0)
	v_mul_f32_e32 v8, v79, v1
	v_fmac_f32_e32 v8, v78, v0
	v_mul_f32_e32 v0, v79, v0
	v_mul_f64 v[6:7], v[11:12], s[0:1]
	v_fma_f32 v0, v78, v1, -v0
	v_cvt_f64_f32_e32 v[0:1], v0
	v_cvt_f64_f32_e32 v[11:12], v8
	v_cvt_f32_f64_e32 v4, v[4:5]
	v_add_co_u32_e32 v8, vcc, s3, v9
	v_mul_f64 v[0:1], v[0:1], s[0:1]
	v_cvt_f32_f64_e32 v5, v[6:7]
	v_mul_f64 v[6:7], v[11:12], s[0:1]
	v_mov_b32_e32 v11, s2
	v_addc_co_u32_e32 v9, vcc, v10, v11, vcc
	global_store_dwordx2 v[8:9], v[4:5], off
	v_mov_b32_e32 v10, s2
	v_cvt_f32_f64_e32 v5, v[0:1]
	v_mul_f32_e32 v0, v75, v3
	v_fmac_f32_e32 v0, v74, v2
	v_mul_f32_e32 v2, v75, v2
	v_fma_f32 v2, v74, v3, -v2
	v_cvt_f32_f64_e32 v4, v[6:7]
	v_cvt_f64_f32_e32 v[0:1], v0
	v_cvt_f64_f32_e32 v[2:3], v2
	ds_read_b64 v[6:7], v97 offset:4400
	v_add_co_u32_e32 v8, vcc, s3, v8
	v_addc_co_u32_e32 v9, vcc, v9, v10, vcc
	v_mul_f64 v[0:1], v[0:1], s[0:1]
	v_mul_f64 v[2:3], v[2:3], s[0:1]
	global_store_dwordx2 v[8:9], v[4:5], off
	s_waitcnt lgkmcnt(0)
	v_mul_f32_e32 v4, v73, v7
	v_fmac_f32_e32 v4, v72, v6
	v_mul_f32_e32 v6, v73, v6
	v_fma_f32 v6, v72, v7, -v6
	v_cvt_f64_f32_e32 v[4:5], v4
	v_cvt_f64_f32_e32 v[6:7], v6
	v_cvt_f32_f64_e32 v0, v[0:1]
	v_cvt_f32_f64_e32 v1, v[2:3]
	v_mul_f64 v[2:3], v[4:5], s[0:1]
	v_mul_f64 v[4:5], v[6:7], s[0:1]
	v_mov_b32_e32 v7, s2
	v_add_co_u32_e32 v6, vcc, s3, v8
	v_addc_co_u32_e32 v7, vcc, v9, v7, vcc
	global_store_dwordx2 v[6:7], v[0:1], off
	v_cvt_f32_f64_e32 v0, v[2:3]
	v_cvt_f32_f64_e32 v1, v[4:5]
	v_mov_b32_e32 v3, s2
	v_add_co_u32_e32 v2, vcc, s3, v6
	v_addc_co_u32_e32 v3, vcc, v7, v3, vcc
	global_store_dwordx2 v[2:3], v[0:1], off
.LBB0_10:
	s_endpgm
	.section	.rodata,"a",@progbits
	.p2align	6, 0x0
	.amdhsa_kernel bluestein_single_fwd_len605_dim1_sp_op_CI_CI
		.amdhsa_group_segment_fixed_size 4840
		.amdhsa_private_segment_fixed_size 0
		.amdhsa_kernarg_size 104
		.amdhsa_user_sgpr_count 6
		.amdhsa_user_sgpr_private_segment_buffer 1
		.amdhsa_user_sgpr_dispatch_ptr 0
		.amdhsa_user_sgpr_queue_ptr 0
		.amdhsa_user_sgpr_kernarg_segment_ptr 1
		.amdhsa_user_sgpr_dispatch_id 0
		.amdhsa_user_sgpr_flat_scratch_init 0
		.amdhsa_user_sgpr_private_segment_size 0
		.amdhsa_uses_dynamic_stack 0
		.amdhsa_system_sgpr_private_segment_wavefront_offset 0
		.amdhsa_system_sgpr_workgroup_id_x 1
		.amdhsa_system_sgpr_workgroup_id_y 0
		.amdhsa_system_sgpr_workgroup_id_z 0
		.amdhsa_system_sgpr_workgroup_info 0
		.amdhsa_system_vgpr_workitem_id 0
		.amdhsa_next_free_vgpr 127
		.amdhsa_next_free_sgpr 20
		.amdhsa_reserve_vcc 1
		.amdhsa_reserve_flat_scratch 0
		.amdhsa_float_round_mode_32 0
		.amdhsa_float_round_mode_16_64 0
		.amdhsa_float_denorm_mode_32 3
		.amdhsa_float_denorm_mode_16_64 3
		.amdhsa_dx10_clamp 1
		.amdhsa_ieee_mode 1
		.amdhsa_fp16_overflow 0
		.amdhsa_exception_fp_ieee_invalid_op 0
		.amdhsa_exception_fp_denorm_src 0
		.amdhsa_exception_fp_ieee_div_zero 0
		.amdhsa_exception_fp_ieee_overflow 0
		.amdhsa_exception_fp_ieee_underflow 0
		.amdhsa_exception_fp_ieee_inexact 0
		.amdhsa_exception_int_div_zero 0
	.end_amdhsa_kernel
	.text
.Lfunc_end0:
	.size	bluestein_single_fwd_len605_dim1_sp_op_CI_CI, .Lfunc_end0-bluestein_single_fwd_len605_dim1_sp_op_CI_CI
                                        ; -- End function
	.section	.AMDGPU.csdata,"",@progbits
; Kernel info:
; codeLenInByte = 14364
; NumSgprs: 24
; NumVgprs: 127
; ScratchSize: 0
; MemoryBound: 0
; FloatMode: 240
; IeeeMode: 1
; LDSByteSize: 4840 bytes/workgroup (compile time only)
; SGPRBlocks: 2
; VGPRBlocks: 31
; NumSGPRsForWavesPerEU: 24
; NumVGPRsForWavesPerEU: 127
; Occupancy: 2
; WaveLimiterHint : 1
; COMPUTE_PGM_RSRC2:SCRATCH_EN: 0
; COMPUTE_PGM_RSRC2:USER_SGPR: 6
; COMPUTE_PGM_RSRC2:TRAP_HANDLER: 0
; COMPUTE_PGM_RSRC2:TGID_X_EN: 1
; COMPUTE_PGM_RSRC2:TGID_Y_EN: 0
; COMPUTE_PGM_RSRC2:TGID_Z_EN: 0
; COMPUTE_PGM_RSRC2:TIDIG_COMP_CNT: 0
	.type	__hip_cuid_13e818ae0fdd77fb,@object ; @__hip_cuid_13e818ae0fdd77fb
	.section	.bss,"aw",@nobits
	.globl	__hip_cuid_13e818ae0fdd77fb
__hip_cuid_13e818ae0fdd77fb:
	.byte	0                               ; 0x0
	.size	__hip_cuid_13e818ae0fdd77fb, 1

	.ident	"AMD clang version 19.0.0git (https://github.com/RadeonOpenCompute/llvm-project roc-6.4.0 25133 c7fe45cf4b819c5991fe208aaa96edf142730f1d)"
	.section	".note.GNU-stack","",@progbits
	.addrsig
	.addrsig_sym __hip_cuid_13e818ae0fdd77fb
	.amdgpu_metadata
---
amdhsa.kernels:
  - .args:
      - .actual_access:  read_only
        .address_space:  global
        .offset:         0
        .size:           8
        .value_kind:     global_buffer
      - .actual_access:  read_only
        .address_space:  global
        .offset:         8
        .size:           8
        .value_kind:     global_buffer
      - .actual_access:  read_only
        .address_space:  global
        .offset:         16
        .size:           8
        .value_kind:     global_buffer
      - .actual_access:  read_only
        .address_space:  global
        .offset:         24
        .size:           8
        .value_kind:     global_buffer
      - .actual_access:  read_only
        .address_space:  global
        .offset:         32
        .size:           8
        .value_kind:     global_buffer
      - .offset:         40
        .size:           8
        .value_kind:     by_value
      - .address_space:  global
        .offset:         48
        .size:           8
        .value_kind:     global_buffer
      - .address_space:  global
        .offset:         56
        .size:           8
        .value_kind:     global_buffer
      - .address_space:  global
        .offset:         64
        .size:           8
        .value_kind:     global_buffer
      - .address_space:  global
        .offset:         72
        .size:           8
        .value_kind:     global_buffer
      - .offset:         80
        .size:           4
        .value_kind:     by_value
      - .address_space:  global
        .offset:         88
        .size:           8
        .value_kind:     global_buffer
      - .address_space:  global
        .offset:         96
        .size:           8
        .value_kind:     global_buffer
    .group_segment_fixed_size: 4840
    .kernarg_segment_align: 8
    .kernarg_segment_size: 104
    .language:       OpenCL C
    .language_version:
      - 2
      - 0
    .max_flat_workgroup_size: 55
    .name:           bluestein_single_fwd_len605_dim1_sp_op_CI_CI
    .private_segment_fixed_size: 0
    .sgpr_count:     24
    .sgpr_spill_count: 0
    .symbol:         bluestein_single_fwd_len605_dim1_sp_op_CI_CI.kd
    .uniform_work_group_size: 1
    .uses_dynamic_stack: false
    .vgpr_count:     127
    .vgpr_spill_count: 0
    .wavefront_size: 64
amdhsa.target:   amdgcn-amd-amdhsa--gfx906
amdhsa.version:
  - 1
  - 2
...

	.end_amdgpu_metadata
